;; amdgpu-corpus repo=ROCm/rocFFT kind=compiled arch=gfx950 opt=O3
	.text
	.amdgcn_target "amdgcn-amd-amdhsa--gfx950"
	.amdhsa_code_object_version 6
	.protected	bluestein_single_back_len585_dim1_sp_op_CI_CI ; -- Begin function bluestein_single_back_len585_dim1_sp_op_CI_CI
	.globl	bluestein_single_back_len585_dim1_sp_op_CI_CI
	.p2align	8
	.type	bluestein_single_back_len585_dim1_sp_op_CI_CI,@function
bluestein_single_back_len585_dim1_sp_op_CI_CI: ; @bluestein_single_back_len585_dim1_sp_op_CI_CI
; %bb.0:
	s_load_dwordx4 s[4:7], s[0:1], 0x28
	v_mul_u32_u24_e32 v1, 0x3f1, v0
	v_lshrrev_b32_e32 v2, 16, v1
	v_mad_u64_u32 v[66:67], s[2:3], s2, 3, v[2:3]
	v_mov_b32_e32 v67, 0
	s_waitcnt lgkmcnt(0)
	v_cmp_gt_u64_e32 vcc, s[4:5], v[66:67]
	s_and_saveexec_b64 s[2:3], vcc
	s_cbranch_execz .LBB0_23
; %bb.1:
	v_mul_lo_u16_e32 v1, 0x41, v2
	s_mov_b32 s2, 0xaaaaaaab
	v_sub_u16_e32 v67, v0, v1
	v_mul_hi_u32 v0, v66, s2
	s_load_dwordx2 s[12:13], s[0:1], 0x0
	s_load_dwordx2 s[14:15], s[0:1], 0x38
	v_lshrrev_b32_e32 v0, 1, v0
	v_lshl_add_u32 v0, v0, 1, v0
	v_sub_u32_e32 v0, v66, v0
	v_mul_u32_u24_e32 v143, 0x249, v0
	v_cmp_gt_u16_e64 s[4:5], 45, v67
	v_lshlrev_b32_e32 v64, 3, v67
	v_lshlrev_b32_e32 v142, 3, v143
	s_and_saveexec_b64 s[2:3], s[4:5]
	s_cbranch_execz .LBB0_3
; %bb.2:
	s_load_dwordx2 s[8:9], s[0:1], 0x18
	v_mov_b32_e32 v0, s6
	v_mov_b32_e32 v1, s7
	;; [unrolled: 1-line block ×4, first 2 shown]
	s_waitcnt lgkmcnt(0)
	s_load_dwordx4 s[8:11], s[8:9], 0x0
	s_waitcnt lgkmcnt(0)
	v_mad_u64_u32 v[2:3], s[6:7], s10, v66, 0
	v_mad_u64_u32 v[4:5], s[6:7], s8, v67, 0
	v_mov_b32_e32 v6, v3
	v_mov_b32_e32 v8, v5
	v_mad_u64_u32 v[6:7], s[6:7], s11, v66, v[6:7]
	v_mov_b32_e32 v3, v6
	v_mad_u64_u32 v[6:7], s[6:7], s9, v67, v[8:9]
	v_mov_b32_e32 v5, v6
	v_lshl_add_u64 v[0:1], v[2:3], 3, v[0:1]
	v_lshl_add_u64 v[0:1], v[4:5], 3, v[0:1]
	global_load_dwordx2 v[2:3], v[0:1], off
	v_mad_u64_u32 v[0:1], s[6:7], s8, v52, v[0:1]
	s_mulk_i32 s9, 0x168
	v_add_u32_e32 v1, s9, v1
	v_mad_u64_u32 v[6:7], s[6:7], s8, v52, v[0:1]
	v_add_u32_e32 v7, s9, v7
	v_mad_u64_u32 v[14:15], s[6:7], s8, v52, v[6:7]
	;; [unrolled: 2-line block ×3, first 2 shown]
	v_add_u32_e32 v17, s9, v17
	global_load_dwordx2 v[8:9], v64, s[12:13]
	global_load_dwordx2 v[10:11], v64, s[12:13] offset:360
	global_load_dwordx2 v[12:13], v64, s[12:13] offset:720
	v_lshl_add_u64 v[4:5], s[12:13], 0, v[64:65]
	global_load_dwordx2 v[0:1], v[0:1], off
	s_nop 0
	global_load_dwordx2 v[18:19], v[6:7], off
	global_load_dwordx2 v[20:21], v[14:15], off
	global_load_dwordx2 v[22:23], v[16:17], off
	v_mad_u64_u32 v[6:7], s[6:7], s8, v52, v[16:17]
	v_add_u32_e32 v7, s9, v7
	global_load_dwordx2 v[14:15], v[6:7], off
	global_load_dwordx2 v[16:17], v64, s[12:13] offset:1080
	v_mad_u64_u32 v[6:7], s[6:7], s8, v52, v[6:7]
	v_add_u32_e32 v7, s9, v7
	global_load_dwordx2 v[24:25], v64, s[12:13] offset:1440
	global_load_dwordx2 v[26:27], v[6:7], off
	global_load_dwordx2 v[28:29], v64, s[12:13] offset:1800
	global_load_dwordx2 v[30:31], v64, s[12:13] offset:2160
	v_mad_u64_u32 v[6:7], s[6:7], s8, v52, v[6:7]
	v_add_u32_e32 v7, s9, v7
	global_load_dwordx2 v[32:33], v[6:7], off
	v_mad_u64_u32 v[6:7], s[6:7], s8, v52, v[6:7]
	v_add_u32_e32 v7, s9, v7
	global_load_dwordx2 v[34:35], v[6:7], off
	v_mad_u64_u32 v[6:7], s[6:7], s8, v52, v[6:7]
	v_add_u32_e32 v7, s9, v7
	global_load_dwordx2 v[36:37], v64, s[12:13] offset:2520
	global_load_dwordx2 v[38:39], v[6:7], off
	v_mad_u64_u32 v[6:7], s[6:7], s8, v52, v[6:7]
	global_load_dwordx2 v[40:41], v64, s[12:13] offset:2880
	v_add_u32_e32 v7, s9, v7
	global_load_dwordx2 v[42:43], v[6:7], off
	global_load_dwordx2 v[44:45], v64, s[12:13] offset:3240
	global_load_dwordx2 v[46:47], v64, s[12:13] offset:3600
	v_mad_u64_u32 v[6:7], s[6:7], s8, v52, v[6:7]
	v_add_u32_e32 v7, s9, v7
	v_add_co_u32_e32 v4, vcc, 0x1000, v4
	global_load_dwordx2 v[48:49], v[6:7], off
	global_load_dwordx2 v[50:51], v64, s[12:13] offset:3960
	v_mad_u64_u32 v[6:7], s[6:7], s8, v52, v[6:7]
	v_addc_co_u32_e32 v5, vcc, 0, v5, vcc
	v_add_u32_e32 v7, s9, v7
	global_load_dwordx2 v[52:53], v[4:5], off offset:224
	global_load_dwordx2 v[54:55], v[6:7], off
	v_lshl_add_u32 v6, v67, 3, v142
	v_add_u32_e32 v7, v142, v64
	s_waitcnt vmcnt(24)
	v_mul_f32_e32 v5, v2, v9
	v_mul_f32_e32 v4, v3, v9
	v_fma_f32 v5, v3, v8, -v5
	v_fmac_f32_e32 v4, v2, v8
	s_waitcnt vmcnt(21)
	v_mul_f32_e32 v2, v1, v11
	v_mul_f32_e32 v3, v0, v11
	v_fmac_f32_e32 v2, v0, v10
	v_fma_f32 v3, v1, v10, -v3
	s_waitcnt vmcnt(20)
	v_mul_f32_e32 v0, v19, v13
	v_mul_f32_e32 v1, v18, v13
	v_fmac_f32_e32 v0, v18, v12
	v_fma_f32 v1, v19, v12, -v1
	ds_write_b64 v6, v[4:5]
	ds_write2_b64 v7, v[2:3], v[0:1] offset0:45 offset1:90
	s_waitcnt vmcnt(16)
	v_mul_f32_e32 v0, v21, v17
	v_mul_f32_e32 v1, v20, v17
	s_waitcnt vmcnt(15)
	v_mul_f32_e32 v2, v23, v25
	v_mul_f32_e32 v3, v22, v25
	v_fmac_f32_e32 v0, v20, v16
	v_fma_f32 v1, v21, v16, -v1
	v_fmac_f32_e32 v2, v22, v24
	v_fma_f32 v3, v23, v24, -v3
	ds_write2_b64 v7, v[0:1], v[2:3] offset0:135 offset1:180
	s_waitcnt vmcnt(13)
	v_mul_f32_e32 v0, v15, v29
	v_mul_f32_e32 v1, v14, v29
	s_waitcnt vmcnt(12)
	v_mul_f32_e32 v2, v27, v31
	v_mul_f32_e32 v3, v26, v31
	v_fmac_f32_e32 v0, v14, v28
	v_fma_f32 v1, v15, v28, -v1
	v_fmac_f32_e32 v2, v26, v30
	v_fma_f32 v3, v27, v30, -v3
	v_add_u32_e32 v4, 0x400, v7
	ds_write2_b64 v4, v[0:1], v[2:3] offset0:97 offset1:142
	s_waitcnt vmcnt(9)
	v_mul_f32_e32 v0, v33, v37
	v_mul_f32_e32 v1, v32, v37
	s_waitcnt vmcnt(7)
	v_mul_f32_e32 v2, v35, v41
	v_mul_f32_e32 v3, v34, v41
	v_fmac_f32_e32 v0, v32, v36
	v_fma_f32 v1, v33, v36, -v1
	v_fmac_f32_e32 v2, v34, v40
	v_fma_f32 v3, v35, v40, -v3
	v_add_u32_e32 v4, 0x800, v7
	ds_write2_b64 v4, v[0:1], v[2:3] offset0:59 offset1:104
	s_waitcnt vmcnt(5)
	v_mul_f32_e32 v0, v39, v45
	v_mul_f32_e32 v1, v38, v45
	s_waitcnt vmcnt(4)
	v_mul_f32_e32 v2, v43, v47
	v_mul_f32_e32 v3, v42, v47
	v_fmac_f32_e32 v0, v38, v44
	v_fma_f32 v1, v39, v44, -v1
	v_fmac_f32_e32 v2, v42, v46
	v_fma_f32 v3, v43, v46, -v3
	ds_write2_b64 v4, v[0:1], v[2:3] offset0:149 offset1:194
	s_waitcnt vmcnt(2)
	v_mul_f32_e32 v0, v49, v51
	v_mul_f32_e32 v1, v48, v51
	s_waitcnt vmcnt(0)
	v_mul_f32_e32 v2, v55, v53
	v_mul_f32_e32 v3, v54, v53
	v_fmac_f32_e32 v0, v48, v50
	v_fma_f32 v1, v49, v50, -v1
	v_fmac_f32_e32 v2, v54, v52
	v_fma_f32 v3, v55, v52, -v3
	v_add_u32_e32 v4, 0xc00, v7
	ds_write2_b64 v4, v[0:1], v[2:3] offset0:111 offset1:156
.LBB0_3:
	s_or_b64 exec, exec, s[2:3]
	v_mov_b64_e32 v[0:1], 0
	s_waitcnt lgkmcnt(0)
	s_barrier
	s_waitcnt lgkmcnt(0)
                                        ; implicit-def: $vgpr6
                                        ; implicit-def: $vgpr12
                                        ; implicit-def: $vgpr10
                                        ; implicit-def: $vgpr20
                                        ; implicit-def: $vgpr18
                                        ; implicit-def: $vgpr24
	s_and_saveexec_b64 s[2:3], s[4:5]
	s_cbranch_execz .LBB0_5
; %bb.4:
	v_lshl_add_u32 v24, v143, 3, v64
	v_add_u32_e32 v20, 0x800, v24
	ds_read2_b64 v[0:3], v24 offset1:45
	ds_read2_b64 v[16:19], v24 offset0:90 offset1:135
	ds_read2_b64 v[8:11], v24 offset0:180 offset1:225
	;; [unrolled: 1-line block ×5, first 2 shown]
	ds_read_b64 v[24:25], v24 offset:4320
.LBB0_5:
	s_or_b64 exec, exec, s[2:3]
	s_waitcnt lgkmcnt(0)
	v_pk_add_f32 v[86:87], v[2:3], v[24:25] neg_lo:[0,1] neg_hi:[0,1]
	s_mov_b32 s6, 0xbeedf032
	v_pk_add_f32 v[34:35], v[24:25], v[2:3]
	v_pk_add_f32 v[114:115], v[16:17], v[22:23] neg_lo:[0,1] neg_hi:[0,1]
	s_mov_b32 s10, 0x3f62ad3f
	v_pk_mul_f32 v[28:29], v[86:87], s[6:7] op_sel_hi:[1,0]
	s_mov_b32 s24, 0xbf52af12
	v_pk_add_f32 v[92:93], v[22:23], v[16:17]
	v_pk_fma_f32 v[48:49], v[34:35], s[10:11], v[28:29] op_sel:[0,0,1] op_sel_hi:[1,0,0]
	v_pk_fma_f32 v[50:51], v[34:35], s[10:11], v[28:29] op_sel:[0,0,1] op_sel_hi:[1,0,0] neg_lo:[0,0,1] neg_hi:[0,0,1]
	s_mov_b32 s16, 0x3f116cb1
	v_pk_mul_f32 v[38:39], v[114:115], s[24:25] op_sel:[1,0] op_sel_hi:[0,0]
	v_mov_b32_e32 v28, v48
	v_mov_b32_e32 v29, v51
	v_pk_fma_f32 v[56:57], v[92:93], s[16:17], v[38:39] op_sel_hi:[1,0,1]
	v_pk_fma_f32 v[58:59], v[92:93], s[16:17], v[38:39] op_sel_hi:[1,0,1] neg_lo:[0,0,1] neg_hi:[0,0,1]
	v_pk_add_f32 v[28:29], v[28:29], v[0:1]
	v_pk_mul_f32 v[32:33], v[86:87], s[24:25] op_sel_hi:[1,0]
	v_mov_b32_e32 v38, v56
	v_mov_b32_e32 v39, v59
	s_mov_b32 s20, 0xbf6f5d39
	v_pk_fma_f32 v[30:31], v[34:35], s[16:17], v[32:33] op_sel:[0,0,1] op_sel_hi:[1,0,0]
	v_pk_fma_f32 v[36:37], v[34:35], s[16:17], v[32:33] op_sel:[0,0,1] op_sel_hi:[1,0,0] neg_lo:[0,0,1] neg_hi:[0,0,1]
	v_pk_add_f32 v[28:29], v[38:39], v[28:29]
	s_mov_b32 s18, 0xbeb58ec6
	v_pk_mul_f32 v[38:39], v[114:115], s[20:21] op_sel:[1,0] op_sel_hi:[0,0]
	s_mov_b32 s28, 0xbf7e222b
	v_mov_b32_e32 v32, v30
	v_mov_b32_e32 v33, v37
	v_pk_fma_f32 v[52:53], v[92:93], s[18:19], v[38:39] op_sel_hi:[1,0,1]
	v_pk_fma_f32 v[54:55], v[92:93], s[18:19], v[38:39] op_sel_hi:[1,0,1] neg_lo:[0,0,1] neg_hi:[0,0,1]
	s_mov_b32 s2, 0x3df6dbef
	v_pk_mul_f32 v[26:27], v[86:87], s[28:29] op_sel_hi:[1,0]
	v_pk_add_f32 v[32:33], v[32:33], v[0:1]
	v_mov_b32_e32 v38, v52
	v_mov_b32_e32 v39, v55
	s_mov_b32 s8, 0xbe750f2a
	v_pk_add_f32 v[32:33], v[38:39], v[32:33]
	v_pk_fma_f32 v[72:73], v[34:35], s[2:3], v[26:27] op_sel:[0,0,1] op_sel_hi:[1,0,0]
	v_pk_fma_f32 v[40:41], v[34:35], s[2:3], v[26:27] op_sel:[0,0,1] op_sel_hi:[1,0,0] neg_lo:[0,0,1] neg_hi:[0,0,1]
	s_mov_b32 s6, 0xbf788fa5
	v_pk_mul_f32 v[38:39], v[114:115], s[8:9] op_sel:[1,0] op_sel_hi:[0,0]
	v_mov_b32_e32 v26, v72
	v_mov_b32_e32 v27, v41
	v_pk_fma_f32 v[44:45], v[92:93], s[6:7], v[38:39] op_sel_hi:[1,0,1]
	v_pk_fma_f32 v[46:47], v[92:93], s[6:7], v[38:39] op_sel_hi:[1,0,1] neg_lo:[0,0,1] neg_hi:[0,0,1]
	v_pk_add_f32 v[26:27], v[26:27], v[0:1]
	v_mov_b32_e32 v38, v44
	v_mov_b32_e32 v39, v47
	v_pk_add_f32 v[144:145], v[18:19], v[20:21] neg_lo:[0,1] neg_hi:[0,1]
	v_pk_add_f32 v[26:27], v[38:39], v[26:27]
	v_pk_add_f32 v[140:141], v[20:21], v[18:19]
	v_pk_mul_f32 v[38:39], v[144:145], s[28:29] op_sel:[1,0] op_sel_hi:[0,0]
	v_pk_fma_f32 v[78:79], v[140:141], s[2:3], v[38:39] op_sel_hi:[1,0,1]
	v_pk_fma_f32 v[80:81], v[140:141], s[2:3], v[38:39] op_sel_hi:[1,0,1] neg_lo:[0,0,1] neg_hi:[0,0,1]
	v_mov_b32_e32 v38, v78
	v_mov_b32_e32 v39, v81
	v_pk_add_f32 v[28:29], v[38:39], v[28:29]
	v_pk_mul_f32 v[38:39], v[144:145], s[8:9] op_sel:[1,0] op_sel_hi:[0,0]
	v_pk_fma_f32 v[68:69], v[140:141], s[6:7], v[38:39] op_sel_hi:[1,0,1]
	v_pk_fma_f32 v[70:71], v[140:141], s[6:7], v[38:39] op_sel_hi:[1,0,1] neg_lo:[0,0,1] neg_hi:[0,0,1]
	v_mov_b32_e32 v38, v68
	v_mov_b32_e32 v39, v71
	s_mov_b32 s22, 0x3f6f5d39
	v_pk_add_f32 v[32:33], v[38:39], v[32:33]
	v_pk_mul_f32 v[38:39], v[144:145], s[22:23] op_sel:[1,0] op_sel_hi:[0,0]
	v_pk_fma_f32 v[60:61], v[140:141], s[18:19], v[38:39] op_sel_hi:[1,0,1]
	v_pk_fma_f32 v[62:63], v[140:141], s[18:19], v[38:39] op_sel_hi:[1,0,1] neg_lo:[0,0,1] neg_hi:[0,0,1]
	v_mov_b32_e32 v38, v60
	v_mov_b32_e32 v39, v63
	v_pk_add_f32 v[148:149], v[8:9], v[14:15] neg_lo:[0,1] neg_hi:[0,1]
	v_pk_add_f32 v[26:27], v[38:39], v[26:27]
	v_pk_add_f32 v[146:147], v[14:15], v[8:9]
	v_pk_mul_f32 v[38:39], v[148:149], s[20:21] op_sel:[1,0] op_sel_hi:[0,0]
	v_pk_fma_f32 v[94:95], v[146:147], s[18:19], v[38:39] op_sel_hi:[1,0,1]
	v_pk_fma_f32 v[96:97], v[146:147], s[18:19], v[38:39] op_sel_hi:[1,0,1] neg_lo:[0,0,1] neg_hi:[0,0,1]
	v_mov_b32_e32 v38, v94
	v_mov_b32_e32 v39, v97
	s_mov_b32 s36, 0x3f29c268
	v_pk_add_f32 v[28:29], v[38:39], v[28:29]
	s_mov_b32 s26, 0xbf3f9e67
	v_pk_mul_f32 v[38:39], v[148:149], s[36:37] op_sel:[1,0] op_sel_hi:[0,0]
	v_pk_fma_f32 v[82:83], v[146:147], s[26:27], v[38:39] op_sel_hi:[1,0,1]
	v_pk_fma_f32 v[84:85], v[146:147], s[26:27], v[38:39] op_sel_hi:[1,0,1] neg_lo:[0,0,1] neg_hi:[0,0,1]
	v_mov_b32_e32 v38, v82
	v_mov_b32_e32 v39, v85
	s_mov_b32 s30, 0x3eedf032
	v_pk_add_f32 v[32:33], v[38:39], v[32:33]
	v_pk_mul_f32 v[38:39], v[148:149], s[30:31] op_sel:[1,0] op_sel_hi:[0,0]
	v_pk_fma_f32 v[74:75], v[146:147], s[10:11], v[38:39] op_sel_hi:[1,0,1]
	v_pk_fma_f32 v[76:77], v[146:147], s[10:11], v[38:39] op_sel_hi:[1,0,1] neg_lo:[0,0,1] neg_hi:[0,0,1]
	v_mov_b32_e32 v38, v74
	v_mov_b32_e32 v39, v77
	s_mov_b32 s34, 0xbf29c268
	v_pk_add_f32 v[152:153], v[10:11], v[12:13] neg_lo:[0,1] neg_hi:[0,1]
	v_pk_add_f32 v[26:27], v[38:39], v[26:27]
	v_pk_add_f32 v[150:151], v[12:13], v[10:11]
	v_pk_mul_f32 v[38:39], v[152:153], s[34:35] op_sel:[1,0] op_sel_hi:[0,0]
	v_pk_fma_f32 v[116:117], v[150:151], s[26:27], v[38:39] op_sel_hi:[1,0,1]
	v_pk_fma_f32 v[122:123], v[150:151], s[26:27], v[38:39] op_sel_hi:[1,0,1] neg_lo:[0,0,1] neg_hi:[0,0,1]
	v_mov_b32_e32 v38, v116
	v_mov_b32_e32 v39, v123
	s_mov_b32 s22, 0x3f7e222b
	v_pk_add_f32 v[154:155], v[38:39], v[28:29]
	v_pk_mul_f32 v[28:29], v[152:153], s[22:23] op_sel:[1,0] op_sel_hi:[0,0]
	v_pk_fma_f32 v[98:99], v[150:151], s[2:3], v[28:29] op_sel_hi:[1,0,1]
	v_pk_fma_f32 v[100:101], v[150:151], s[2:3], v[28:29] op_sel_hi:[1,0,1] neg_lo:[0,0,1] neg_hi:[0,0,1]
	v_mov_b32_e32 v28, v98
	v_mov_b32_e32 v29, v101
	v_pk_add_f32 v[28:29], v[28:29], v[32:33]
	v_pk_mul_f32 v[32:33], v[152:153], s[24:25] op_sel:[1,0] op_sel_hi:[0,0]
	v_pk_fma_f32 v[88:89], v[150:151], s[16:17], v[32:33] op_sel_hi:[1,0,1]
	v_pk_fma_f32 v[90:91], v[150:151], s[16:17], v[32:33] op_sel_hi:[1,0,1] neg_lo:[0,0,1] neg_hi:[0,0,1]
	v_mov_b32_e32 v32, v88
	v_mov_b32_e32 v33, v91
	v_pk_add_f32 v[158:159], v[4:5], v[6:7] neg_lo:[0,1] neg_hi:[0,1]
	v_pk_add_f32 v[26:27], v[32:33], v[26:27]
	v_pk_add_f32 v[156:157], v[6:7], v[4:5]
	v_pk_mul_f32 v[32:33], v[158:159], s[30:31] op_sel:[1,0] op_sel_hi:[0,0]
	v_pk_fma_f32 v[118:119], v[156:157], s[10:11], v[32:33] op_sel_hi:[1,0,1]
	v_pk_fma_f32 v[120:121], v[156:157], s[10:11], v[32:33] op_sel_hi:[1,0,1] neg_lo:[0,0,1] neg_hi:[0,0,1]
	v_mov_b32_e32 v32, v118
	v_mov_b32_e32 v33, v121
	v_pk_add_f32 v[32:33], v[32:33], v[28:29]
	v_pk_mul_f32 v[28:29], v[158:159], s[34:35] op_sel:[1,0] op_sel_hi:[0,0]
	v_pk_fma_f32 v[110:111], v[156:157], s[26:27], v[28:29] op_sel_hi:[1,0,1]
	v_pk_fma_f32 v[112:113], v[156:157], s[26:27], v[28:29] op_sel_hi:[1,0,1] neg_lo:[0,0,1] neg_hi:[0,0,1]
	v_mov_b32_e32 v28, v110
	v_mov_b32_e32 v29, v113
	v_pk_add_f32 v[38:39], v[28:29], v[26:27]
	v_pk_mul_f32 v[26:27], v[86:87], s[20:21] op_sel_hi:[1,0]
	v_pk_mul_f32 v[28:29], v[114:115], s[36:37] op_sel:[1,0] op_sel_hi:[0,0]
	v_pk_fma_f32 v[102:103], v[34:35], s[18:19], v[26:27] op_sel:[0,0,1] op_sel_hi:[1,0,0]
	v_pk_fma_f32 v[104:105], v[34:35], s[18:19], v[26:27] op_sel:[0,0,1] op_sel_hi:[1,0,0] neg_lo:[0,0,1] neg_hi:[0,0,1]
	v_mov_b32_e32 v26, v102
	v_mov_b32_e32 v27, v105
	v_pk_fma_f32 v[106:107], v[92:93], s[26:27], v[28:29] op_sel_hi:[1,0,1]
	v_pk_fma_f32 v[108:109], v[92:93], s[26:27], v[28:29] op_sel_hi:[1,0,1] neg_lo:[0,0,1] neg_hi:[0,0,1]
	v_mov_b32_e32 v28, v106
	v_mov_b32_e32 v29, v109
	v_pk_add_f32 v[26:27], v[26:27], v[0:1]
	s_mov_b32 s36, 0x3f52af12
	v_pk_add_f32 v[26:27], v[28:29], v[26:27]
	v_pk_mul_f32 v[28:29], v[144:145], s[30:31] op_sel:[1,0] op_sel_hi:[0,0]
	v_pk_fma_f32 v[124:125], v[140:141], s[10:11], v[28:29] op_sel_hi:[1,0,1]
	v_pk_fma_f32 v[126:127], v[140:141], s[10:11], v[28:29] op_sel_hi:[1,0,1] neg_lo:[0,0,1] neg_hi:[0,0,1]
	v_mov_b32_e32 v28, v124
	v_mov_b32_e32 v29, v127
	v_pk_add_f32 v[26:27], v[28:29], v[26:27]
	v_pk_mul_f32 v[28:29], v[148:149], s[28:29] op_sel:[1,0] op_sel_hi:[0,0]
	v_pk_fma_f32 v[128:129], v[146:147], s[2:3], v[28:29] op_sel_hi:[1,0,1]
	v_pk_fma_f32 v[130:131], v[146:147], s[2:3], v[28:29] op_sel_hi:[1,0,1] neg_lo:[0,0,1] neg_hi:[0,0,1]
	v_mov_b32_e32 v28, v128
	v_mov_b32_e32 v29, v131
	s_mov_b32 s28, 0x3e750f2a
	v_pk_add_f32 v[26:27], v[28:29], v[26:27]
	v_pk_mul_f32 v[28:29], v[152:153], s[28:29] op_sel:[1,0] op_sel_hi:[0,0]
	v_pk_fma_f32 v[132:133], v[150:151], s[6:7], v[28:29] op_sel_hi:[1,0,1]
	v_pk_fma_f32 v[134:135], v[150:151], s[6:7], v[28:29] op_sel_hi:[1,0,1] neg_lo:[0,0,1] neg_hi:[0,0,1]
	v_mov_b32_e32 v28, v132
	v_mov_b32_e32 v29, v135
	v_pk_add_f32 v[26:27], v[28:29], v[26:27]
	v_pk_mul_f32 v[28:29], v[158:159], s[36:37] op_sel:[1,0] op_sel_hi:[0,0]
	v_pk_fma_f32 v[136:137], v[156:157], s[16:17], v[28:29] op_sel_hi:[1,0,1]
	v_pk_fma_f32 v[138:139], v[156:157], s[16:17], v[28:29] op_sel_hi:[1,0,1] neg_lo:[0,0,1] neg_hi:[0,0,1]
	v_mov_b32_e32 v28, v136
	v_mov_b32_e32 v29, v139
	v_pk_add_f32 v[28:29], v[28:29], v[26:27]
	v_pk_mul_f32 v[26:27], v[86:87], s[34:35] op_sel_hi:[1,0]
	v_pk_mul_f32 v[162:163], v[114:115], s[22:23] op_sel:[1,0] op_sel_hi:[0,0]
	v_pk_fma_f32 v[42:43], v[34:35], s[26:27], v[26:27] op_sel:[0,0,1] op_sel_hi:[1,0,0]
	v_pk_fma_f32 v[26:27], v[34:35], s[26:27], v[26:27] op_sel:[0,0,1] op_sel_hi:[1,0,0] neg_lo:[0,0,1] neg_hi:[0,0,1]
	v_mov_b32_e32 v160, v42
	v_mov_b32_e32 v161, v27
	v_pk_fma_f32 v[164:165], v[92:93], s[2:3], v[162:163] op_sel_hi:[1,0,1]
	v_pk_fma_f32 v[162:163], v[92:93], s[2:3], v[162:163] op_sel_hi:[1,0,1] neg_lo:[0,0,1] neg_hi:[0,0,1]
	v_mov_b32_e32 v166, v164
	v_mov_b32_e32 v167, v163
	v_pk_add_f32 v[160:161], v[160:161], v[0:1]
	v_mov_b32_e32 v27, v43
	v_pk_add_f32 v[160:161], v[166:167], v[160:161]
	v_pk_mul_f32 v[166:167], v[144:145], s[24:25] op_sel:[1,0] op_sel_hi:[0,0]
	v_pk_fma_f32 v[168:169], v[140:141], s[16:17], v[166:167] op_sel_hi:[1,0,1]
	v_pk_fma_f32 v[166:167], v[140:141], s[16:17], v[166:167] op_sel_hi:[1,0,1] neg_lo:[0,0,1] neg_hi:[0,0,1]
	v_mov_b32_e32 v170, v168
	v_mov_b32_e32 v171, v167
	v_pk_add_f32 v[160:161], v[170:171], v[160:161]
	v_pk_mul_f32 v[170:171], v[148:149], s[28:29] op_sel:[1,0] op_sel_hi:[0,0]
	v_mov_b32_e32 v163, v165
	v_pk_add_f32 v[26:27], v[26:27], v[0:1]
	v_pk_fma_f32 v[172:173], v[146:147], s[6:7], v[170:171] op_sel_hi:[1,0,1]
	v_pk_fma_f32 v[170:171], v[146:147], s[6:7], v[170:171] op_sel_hi:[1,0,1] neg_lo:[0,0,1] neg_hi:[0,0,1]
	v_mov_b32_e32 v167, v169
	v_pk_mul_f32 v[42:43], v[152:153], s[30:31] op_sel:[1,0] op_sel_hi:[0,0]
	v_pk_add_f32 v[26:27], v[162:163], v[26:27]
	v_mov_b32_e32 v174, v172
	v_mov_b32_e32 v175, v171
	;; [unrolled: 1-line block ×3, first 2 shown]
	v_pk_fma_f32 v[164:165], v[150:151], s[10:11], v[42:43] op_sel_hi:[1,0,1]
	v_pk_fma_f32 v[42:43], v[150:151], s[10:11], v[42:43] op_sel_hi:[1,0,1] neg_lo:[0,0,1] neg_hi:[0,0,1]
	v_pk_add_f32 v[26:27], v[166:167], v[26:27]
	v_pk_add_f32 v[160:161], v[174:175], v[160:161]
	v_mov_b32_e32 v168, v164
	v_mov_b32_e32 v169, v43
	;; [unrolled: 1-line block ×3, first 2 shown]
	v_pk_add_f32 v[26:27], v[170:171], v[26:27]
	v_pk_mul_f32 v[86:87], v[86:87], s[8:9] op_sel_hi:[1,0]
	v_pk_add_f32 v[26:27], v[42:43], v[26:27]
	v_pk_add_f32 v[42:43], v[168:169], v[160:161]
	v_pk_mul_f32 v[160:161], v[156:157], s[18:19] op_sel_hi:[1,0]
	v_mul_lo_u16_e32 v128, 13, v67
	v_pk_fma_f32 v[162:163], v[158:159], s[20:21], v[160:161] op_sel:[1,0,0] op_sel_hi:[0,0,1] neg_lo:[1,0,0] neg_hi:[1,0,0]
	v_pk_fma_f32 v[160:161], v[158:159], s[20:21], v[160:161] op_sel:[1,0,0] op_sel_hi:[0,0,1]
	v_mov_b32_e32 v165, v161
	v_mov_b32_e32 v161, v163
	v_pk_add_f32 v[42:43], v[160:161], v[42:43]
	v_pk_fma_f32 v[160:161], v[34:35], s[6:7], v[86:87] op_sel:[0,0,1] op_sel_hi:[1,0,0]
	v_pk_fma_f32 v[34:35], v[34:35], s[6:7], v[86:87] op_sel:[0,0,1] op_sel_hi:[1,0,0] neg_lo:[0,0,1] neg_hi:[0,0,1]
	v_pk_mul_f32 v[86:87], v[114:115], s[30:31] op_sel:[1,0] op_sel_hi:[0,0]
	v_pk_fma_f32 v[114:115], v[92:93], s[10:11], v[86:87] op_sel_hi:[1,0,1]
	v_pk_fma_f32 v[86:87], v[92:93], s[10:11], v[86:87] op_sel_hi:[1,0,1] neg_lo:[0,0,1] neg_hi:[0,0,1]
	v_pk_mul_f32 v[92:93], v[144:145], s[34:35] op_sel:[1,0] op_sel_hi:[0,0]
	v_pk_fma_f32 v[144:145], v[140:141], s[26:27], v[92:93] op_sel_hi:[1,0,1]
	v_pk_fma_f32 v[92:93], v[140:141], s[26:27], v[92:93] op_sel_hi:[1,0,1] neg_lo:[0,0,1] neg_hi:[0,0,1]
	;; [unrolled: 3-line block ×4, first 2 shown]
	v_mov_b32_e32 v150, v160
	v_mov_b32_e32 v151, v35
	;; [unrolled: 1-line block ×6, first 2 shown]
	v_pk_add_f32 v[150:151], v[150:151], v[0:1]
	v_mov_b32_e32 v87, v115
	v_pk_add_f32 v[34:35], v[34:35], v[0:1]
	v_pk_add_f32 v[150:151], v[162:163], v[150:151]
	v_mov_b32_e32 v162, v144
	v_mov_b32_e32 v163, v93
	;; [unrolled: 1-line block ×3, first 2 shown]
	v_pk_add_f32 v[34:35], v[86:87], v[34:35]
	v_pk_add_f32 v[150:151], v[162:163], v[150:151]
	v_mov_b32_e32 v163, v141
	v_mov_b32_e32 v141, v149
	v_pk_add_f32 v[34:35], v[92:93], v[34:35]
	v_pk_mul_f32 v[86:87], v[158:159], s[8:9] op_sel:[1,0] op_sel_hi:[0,0]
	v_mov_b32_e32 v162, v148
	v_pk_add_f32 v[34:35], v[140:141], v[34:35]
	v_pk_fma_f32 v[114:115], v[156:157], s[6:7], v[86:87] op_sel_hi:[1,0,1]
	v_pk_fma_f32 v[140:141], v[156:157], s[6:7], v[86:87] op_sel_hi:[1,0,1] neg_lo:[0,0,1] neg_hi:[0,0,1]
	v_pk_mul_f32 v[86:87], v[158:159], s[22:23] op_sel:[1,0] op_sel_hi:[0,0]
	s_load_dwordx2 s[8:9], s[0:1], 0x20
	s_load_dwordx2 s[6:7], s[0:1], 0x8
	v_pk_add_f32 v[150:151], v[162:163], v[150:151]
	v_mov_b32_e32 v163, v147
	v_mov_b32_e32 v147, v153
	v_pk_fma_f32 v[144:145], v[156:157], s[2:3], v[86:87] op_sel_hi:[1,0,1] neg_lo:[0,0,1] neg_hi:[0,0,1]
	v_pk_fma_f32 v[86:87], v[156:157], s[2:3], v[86:87] op_sel_hi:[1,0,1]
	v_mov_b32_e32 v162, v152
	v_pk_add_f32 v[34:35], v[146:147], v[34:35]
	v_mov_b32_e32 v92, v144
	v_mov_b32_e32 v93, v87
	v_pk_add_f32 v[150:151], v[162:163], v[150:151]
	v_pk_add_f32 v[92:93], v[92:93], v[34:35]
	v_mov_b32_e32 v87, v145
	v_mov_b32_e32 v34, v114
	v_mov_b32_e32 v35, v141
	v_pk_add_f32 v[26:27], v[164:165], v[26:27]
	v_pk_add_f32 v[86:87], v[86:87], v[150:151]
	v_pk_add_f32 v[34:35], v[34:35], v[154:155]
	s_waitcnt lgkmcnt(0)
	s_barrier
	s_and_saveexec_b64 s[0:1], s[4:5]
	s_cbranch_execz .LBB0_7
; %bb.6:
	v_pk_add_f32 v[2:3], v[2:3], v[0:1]
	v_mov_b32_e32 v51, v49
	v_pk_add_f32 v[2:3], v[16:17], v[2:3]
	v_mov_b32_e32 v59, v57
	;; [unrolled: 2-line block ×5, first 2 shown]
	v_pk_add_f32 v[2:3], v[4:5], v[2:3]
	v_pk_add_f32 v[4:5], v[50:51], v[0:1]
	;; [unrolled: 1-line block ×11, first 2 shown]
	v_mov_b32_e32 v141, v115
	v_mov_b32_e32 v41, v73
	v_add_lshl_u32 v6, v143, v128, 3
	v_pk_add_f32 v[2:3], v[24:25], v[2:3]
	v_pk_add_f32 v[4:5], v[140:141], v[4:5]
	v_mov_b32_e32 v37, v31
	v_mov_b32_e32 v105, v103
	ds_write2_b64 v6, v[2:3], v[4:5] offset1:1
	v_pk_add_f32 v[2:3], v[36:37], v[0:1]
	v_mov_b32_e32 v55, v53
	v_pk_add_f32 v[4:5], v[40:41], v[0:1]
	v_mov_b32_e32 v47, v45
	;; [unrolled: 2-line block ×15, first 2 shown]
	v_pk_add_f32 v[2:3], v[120:121], v[2:3]
	v_pk_add_f32 v[4:5], v[112:113], v[4:5]
	;; [unrolled: 1-line block ×3, first 2 shown]
	ds_write2_b64 v6, v[2:3], v[4:5] offset0:2 offset1:3
	ds_write2_b64 v6, v[0:1], v[26:27] offset0:4 offset1:5
	;; [unrolled: 1-line block ×5, first 2 shown]
	ds_write_b64 v6, v[34:35] offset:96
.LBB0_7:
	s_or_b64 exec, exec, s[0:1]
	v_add_lshl_u32 v120, v143, v67, 3
	v_add_u32_e32 v0, 0x400, v120
	s_waitcnt lgkmcnt(0)
	s_barrier
	ds_read2_b64 v[16:19], v120 offset1:117
	ds_read2_b64 v[20:23], v0 offset0:106 offset1:223
	ds_read_b64 v[24:25], v120 offset:3744
	v_cmp_gt_u16_e64 s[2:3], 52, v67
	s_and_saveexec_b64 s[0:1], s[2:3]
	s_cbranch_execz .LBB0_9
; %bb.8:
	ds_read2_b64 v[0:3], v120 offset0:65 offset1:182
	v_add_u32_e32 v4, 0x800, v120
	ds_read2_b64 v[4:7], v4 offset0:43 offset1:160
	ds_read_b64 v[28:29], v120 offset:4264
	s_waitcnt lgkmcnt(2)
	v_mov_b64_e32 v[26:27], v[0:1]
	s_waitcnt lgkmcnt(1)
	v_mov_b64_e32 v[86:87], v[4:5]
	v_mov_b64_e32 v[42:43], v[6:7]
	;; [unrolled: 1-line block ×3, first 2 shown]
.LBB0_9:
	s_or_b64 exec, exec, s[0:1]
	s_movk_i32 s0, 0x4f
	v_mul_lo_u16_sdwa v0, v67, s0 dst_sel:DWORD dst_unused:UNUSED_PAD src0_sel:BYTE_0 src1_sel:DWORD
	v_lshrrev_b16_e32 v30, 10, v0
	v_add_u16_e32 v0, 0x41, v67
	v_mul_lo_u16_sdwa v1, v0, s0 dst_sel:DWORD dst_unused:UNUSED_PAD src0_sel:BYTE_0 src1_sel:DWORD
	v_lshrrev_b16_e32 v121, 10, v1
	v_mul_lo_u16_e32 v1, 13, v121
	v_mov_b32_e32 v8, 5
	v_sub_u16_e32 v122, v0, v1
	v_lshlrev_b32_sdwa v9, v8, v122 dst_sel:DWORD dst_unused:UNUSED_PAD src0_sel:DWORD src1_sel:BYTE_0
	global_load_dwordx4 v[0:3], v9, s[6:7] offset:16
	global_load_dwordx4 v[4:7], v9, s[6:7]
	v_mul_lo_u16_e32 v9, 13, v30
	v_sub_u16_e32 v31, v67, v9
	v_lshlrev_b32_sdwa v36, v8, v31 dst_sel:DWORD dst_unused:UNUSED_PAD src0_sel:DWORD src1_sel:BYTE_0
	global_load_dwordx4 v[12:15], v36, s[6:7]
	global_load_dwordx4 v[8:11], v36, s[6:7] offset:16
	v_mul_u32_u24_e32 v30, 0x41, v30
	v_add_u32_sdwa v30, v30, v31 dst_sel:DWORD dst_unused:UNUSED_PAD src0_sel:DWORD src1_sel:BYTE_0
	v_add_lshl_u32 v123, v143, v30, 3
	s_mov_b32 s0, 0x3f737871
	s_mov_b32 s18, 0x3f167918
	s_load_dwordx4 s[8:11], s[8:9], 0x0
	s_mov_b32 s16, 0x3e9e377a
	s_waitcnt lgkmcnt(0)
	s_barrier
	s_waitcnt vmcnt(3)
	v_pk_mul_f32 v[46:47], v[42:43], v[0:1] op_sel:[1,0]
	s_waitcnt vmcnt(2)
	v_pk_mul_f32 v[36:37], v[92:93], v[4:5] op_sel:[1,0]
	v_pk_mul_f32 v[44:45], v[86:87], v[6:7] op_sel:[1,0]
	;; [unrolled: 1-line block ×3, first 2 shown]
	s_waitcnt vmcnt(1)
	v_pk_mul_f32 v[50:51], v[18:19], v[12:13] op_sel:[0,1]
	v_mov_b32_e32 v52, v15
	s_waitcnt vmcnt(0)
	v_pk_mul_f32 v[54:55], v[22:23], v[8:9] op_sel:[0,1]
	v_mov_b32_e32 v56, v11
	v_pk_fma_f32 v[30:31], v[92:93], v[4:5], v[36:37] op_sel:[0,0,1] op_sel_hi:[1,1,0] neg_lo:[0,0,1] neg_hi:[0,0,1]
	v_pk_fma_f32 v[36:37], v[92:93], v[4:5], v[36:37] op_sel:[0,0,1] op_sel_hi:[0,1,0]
	v_pk_fma_f32 v[40:41], v[86:87], v[6:7], v[44:45] op_sel:[0,0,1] op_sel_hi:[1,1,0] neg_lo:[0,0,1] neg_hi:[0,0,1]
	v_pk_fma_f32 v[58:59], v[86:87], v[6:7], v[44:45] op_sel:[0,0,1] op_sel_hi:[0,1,0]
	;; [unrolled: 2-line block ×5, first 2 shown]
	v_pk_mul_f32 v[50:51], v[20:21], v[52:53] op_sel_hi:[1,0]
	v_pk_fma_f32 v[52:53], v[22:23], v[8:9], v[54:55] op_sel:[0,0,1] op_sel_hi:[1,1,0] neg_lo:[0,0,1] neg_hi:[0,0,1]
	v_pk_fma_f32 v[22:23], v[22:23], v[8:9], v[54:55] op_sel:[0,0,1] op_sel_hi:[1,0,0]
	v_pk_mul_f32 v[54:55], v[24:25], v[56:57] op_sel_hi:[1,0]
	v_mov_b32_e32 v31, v37
	v_mov_b32_e32 v41, v59
	;; [unrolled: 1-line block ×5, first 2 shown]
	v_pk_fma_f32 v[46:47], v[20:21], v[14:15], v[50:51] op_sel:[0,0,1] op_sel_hi:[1,1,0] neg_lo:[0,0,1] neg_hi:[0,0,1]
	v_pk_fma_f32 v[28:29], v[20:21], v[14:15], v[50:51] op_sel:[0,0,1] op_sel_hi:[1,0,0]
	v_mov_b32_e32 v53, v23
	v_pk_fma_f32 v[50:51], v[24:25], v[10:11], v[54:55] op_sel:[0,0,1] op_sel_hi:[1,1,0] neg_lo:[0,0,1] neg_hi:[0,0,1]
	v_pk_fma_f32 v[22:23], v[24:25], v[10:11], v[54:55] op_sel:[0,0,1] op_sel_hi:[1,0,0]
	v_pk_add_f32 v[36:37], v[30:31], v[40:41] neg_lo:[0,1] neg_hi:[0,1]
	v_pk_add_f32 v[54:55], v[42:43], v[44:45] neg_lo:[0,1] neg_hi:[0,1]
	v_mov_b32_e32 v47, v29
	v_mov_b32_e32 v51, v23
	v_pk_add_f32 v[28:29], v[16:17], v[48:49]
	v_pk_add_f32 v[24:25], v[40:41], v[44:45]
	;; [unrolled: 1-line block ×5, first 2 shown]
	v_pk_add_f32 v[58:59], v[48:49], v[50:51] neg_lo:[0,1] neg_hi:[0,1]
	v_pk_add_f32 v[60:61], v[46:47], v[52:53] neg_lo:[0,1] neg_hi:[0,1]
	;; [unrolled: 1-line block ×3, first 2 shown]
	v_pk_add_f32 v[70:71], v[48:49], v[50:51]
	v_pk_add_f32 v[46:47], v[46:47], v[48:49] neg_lo:[0,1] neg_hi:[0,1]
	v_pk_add_f32 v[48:49], v[52:53], v[50:51] neg_lo:[0,1] neg_hi:[0,1]
	;; [unrolled: 1-line block ×3, first 2 shown]
	v_pk_fma_f32 v[56:57], v[24:25], 0.5, v[26:27] op_sel_hi:[1,0,1] neg_lo:[1,0,0] neg_hi:[1,0,0]
	v_pk_add_f32 v[36:37], v[36:37], v[52:53]
	v_pk_fma_f32 v[54:55], v[54:55], 0.5, v[16:17] op_sel_hi:[1,0,1] neg_lo:[1,0,0] neg_hi:[1,0,0]
	v_pk_fma_f32 v[16:17], v[70:71], 0.5, v[16:17] op_sel_hi:[1,0,1] neg_lo:[1,0,0] neg_hi:[1,0,0]
	v_pk_add_f32 v[46:47], v[46:47], v[48:49]
	v_pk_mul_f32 v[48:49], v[60:61], s[0:1] op_sel_hi:[1,0]
	v_pk_add_f32 v[18:19], v[40:41], v[44:45] neg_lo:[0,1] neg_hi:[0,1]
	v_pk_add_f32 v[68:69], v[50:51], v[52:53] neg_lo:[0,1] neg_hi:[0,1]
	v_pk_fma_f32 v[24:25], v[20:21], s[0:1], v[56:57] op_sel:[1,0,0] op_sel_hi:[0,0,1] neg_lo:[1,0,0] neg_hi:[1,0,0]
	v_pk_fma_f32 v[28:29], v[20:21], s[0:1], v[56:57] op_sel:[1,0,0] op_sel_hi:[0,0,1]
	v_pk_mul_f32 v[56:57], v[58:59], s[0:1] op_sel_hi:[1,0]
	v_pk_add_f32 v[74:75], v[36:37], v[50:51]
	v_pk_mul_f32 v[50:51], v[58:59], s[18:19] op_sel_hi:[1,0]
	v_pk_add_f32 v[52:53], v[16:17], v[48:49] op_sel:[0,1] op_sel_hi:[1,0] neg_lo:[0,1] neg_hi:[0,1]
	v_pk_add_f32 v[16:17], v[16:17], v[48:49] op_sel:[0,1] op_sel_hi:[1,0]
	v_pk_mul_f32 v[72:73], v[60:61], s[18:19] op_sel_hi:[1,0]
	v_pk_add_f32 v[62:63], v[62:63], v[68:69]
	v_pk_fma_f32 v[68:69], v[18:19], s[18:19], v[24:25] op_sel:[1,0,0] op_sel_hi:[0,0,1] neg_lo:[1,0,0] neg_hi:[1,0,0]
	v_pk_fma_f32 v[70:71], v[18:19], s[18:19], v[28:29] op_sel:[1,0,0] op_sel_hi:[0,0,1]
	v_pk_add_f32 v[36:37], v[54:55], v[56:57] op_sel:[0,1] op_sel_hi:[1,0]
	v_pk_add_f32 v[54:55], v[54:55], v[56:57] op_sel:[0,1] op_sel_hi:[1,0] neg_lo:[0,1] neg_hi:[0,1]
	v_pk_add_f32 v[16:17], v[16:17], v[50:51] op_sel:[0,1] op_sel_hi:[1,0] neg_lo:[0,1] neg_hi:[0,1]
	v_pk_add_f32 v[48:49], v[52:53], v[50:51] op_sel:[0,1] op_sel_hi:[1,0]
	v_mov_b32_e32 v69, v71
	v_pk_add_f32 v[54:55], v[54:55], v[72:73] op_sel:[0,1] op_sel_hi:[1,0] neg_lo:[0,1] neg_hi:[0,1]
	v_pk_add_f32 v[56:57], v[36:37], v[72:73] op_sel:[0,1] op_sel_hi:[1,0]
	v_mov_b32_e32 v50, v48
	v_mov_b32_e32 v51, v17
	;; [unrolled: 1-line block ×3, first 2 shown]
	v_pk_fma_f32 v[36:37], v[22:23], s[16:17], v[68:69] op_sel_hi:[1,0,1]
	v_mov_b32_e32 v68, v56
	v_mov_b32_e32 v69, v55
	v_pk_fma_f32 v[50:51], v[46:47], s[16:17], v[50:51] op_sel_hi:[1,0,1]
	v_pk_fma_f32 v[16:17], v[46:47], s[16:17], v[16:17] op_sel_hi:[1,0,1]
	v_mov_b32_e32 v55, v57
	v_pk_fma_f32 v[68:69], v[62:63], s[16:17], v[68:69] op_sel_hi:[1,0,1]
	ds_write2_b64 v123, v[50:51], v[16:17] offset0:26 offset1:39
	v_pk_fma_f32 v[16:17], v[62:63], s[16:17], v[54:55] op_sel_hi:[1,0,1]
	ds_write2_b64 v123, v[74:75], v[68:69] offset1:13
	ds_write_b64 v123, v[16:17] offset:416
	s_and_saveexec_b64 s[20:21], s[2:3]
	s_cbranch_execz .LBB0_11
; %bb.10:
	v_mul_u32_u24_e32 v46, 0x41, v121
	v_add_u32_sdwa v46, v46, v122 dst_sel:DWORD dst_unused:UNUSED_PAD src0_sel:DWORD src1_sel:BYTE_0
	v_mov_b32_e32 v16, v21
	v_mov_b32_e32 v17, v20
	;; [unrolled: 1-line block ×4, first 2 shown]
	v_pk_mul_f32 v[18:19], v[18:19], s[18:19] op_sel:[1,0] op_sel_hi:[0,0]
	v_add_lshl_u32 v48, v143, v46, 3
	v_pk_add_f32 v[46:47], v[26:27], v[30:31]
	v_pk_add_f32 v[28:29], v[28:29], v[18:19]
	v_pk_add_f32 v[46:47], v[46:47], v[40:41]
	v_pk_add_f32 v[18:19], v[24:25], v[18:19] neg_lo:[0,1] neg_hi:[0,1]
	v_pk_mul_f32 v[22:23], v[22:23], s[16:17] op_sel_hi:[1,0]
	v_pk_add_f32 v[46:47], v[46:47], v[44:45]
	v_mov_b32_e32 v29, v19
	v_pk_add_f32 v[46:47], v[46:47], v[42:43]
	v_pk_add_f32 v[18:19], v[22:23], v[28:29]
	ds_write2_b64 v48, v[46:47], v[18:19] offset1:13
	v_pk_add_f32 v[18:19], v[30:31], v[42:43]
	v_pk_add_f32 v[22:23], v[40:41], v[30:31] neg_lo:[0,1] neg_hi:[0,1]
	v_pk_fma_f32 v[18:19], -0.5, v[18:19], v[26:27] op_sel_hi:[0,1,1]
	v_pk_add_f32 v[24:25], v[44:45], v[42:43] neg_lo:[0,1] neg_hi:[0,1]
	s_nop 0
	v_pk_add_f32 v[22:23], v[22:23], v[24:25]
	v_pk_fma_f32 v[24:25], v[20:21], s[0:1], v[18:19] op_sel_hi:[1,0,1] neg_lo:[1,0,0] neg_hi:[1,0,0]
	v_pk_fma_f32 v[18:19], v[20:21], s[0:1], v[18:19] op_sel_hi:[1,0,1]
	s_nop 0
	v_pk_fma_f32 v[18:19], v[16:17], s[18:19], v[18:19] op_sel_hi:[1,0,1] neg_lo:[1,0,0] neg_hi:[1,0,0]
	v_pk_fma_f32 v[16:17], v[16:17], s[18:19], v[24:25] op_sel_hi:[1,0,1]
	v_mov_b32_e32 v21, v19
	v_mov_b32_e32 v20, v16
	v_mov_b32_e32 v19, v17
	v_pk_fma_f32 v[20:21], v[22:23], s[16:17], v[20:21] op_sel_hi:[1,0,1]
	v_pk_fma_f32 v[16:17], v[22:23], s[16:17], v[18:19] op_sel_hi:[1,0,1]
	ds_write2_b64 v48, v[20:21], v[16:17] offset0:26 offset1:39
	ds_write_b64 v48, v[36:37] offset:416
.LBB0_11:
	s_or_b64 exec, exec, s[20:21]
	v_lshlrev_b32_e32 v40, 6, v67
	s_waitcnt lgkmcnt(0)
	s_barrier
	global_load_dwordx4 v[20:23], v40, s[6:7] offset:448
	global_load_dwordx4 v[28:31], v40, s[6:7] offset:416
	;; [unrolled: 1-line block ×4, first 2 shown]
	v_add_u32_e32 v44, 0x800, v120
	v_add_u32_e32 v48, 0xc00, v120
	;; [unrolled: 1-line block ×3, first 2 shown]
	ds_read2_b64 v[40:43], v120 offset0:65 offset1:130
	ds_read_b64 v[56:57], v120
	ds_read2_b64 v[44:47], v44 offset0:69 offset1:134
	ds_read2_b64 v[48:51], v48 offset0:71 offset1:136
	;; [unrolled: 1-line block ×3, first 2 shown]
	s_mov_b32 s22, 0x3f248dbb
	s_mov_b32 s23, 0x3f7c1c5c
	;; [unrolled: 1-line block ×9, first 2 shown]
	v_lshl_add_u32 v124, v67, 3, v142
	s_waitcnt vmcnt(3) lgkmcnt(2)
	v_pk_mul_f32 v[58:59], v[44:45], v[20:21] op_sel:[0,1]
	s_waitcnt vmcnt(2)
	v_pk_mul_f32 v[60:61], v[40:41], v[28:29] op_sel:[0,1]
	v_mov_b32_e32 v62, v31
	s_waitcnt vmcnt(1) lgkmcnt(0)
	v_pk_mul_f32 v[68:69], v[52:53], v[24:25] op_sel:[0,1]
	v_mov_b32_e32 v70, v27
	v_mov_b32_e32 v72, v23
	s_waitcnt vmcnt(0)
	v_pk_mul_f32 v[74:75], v[48:49], v[16:17] op_sel:[0,1]
	v_mov_b32_e32 v76, v19
	v_pk_fma_f32 v[78:79], v[44:45], v[20:21], v[58:59] op_sel:[0,0,1] op_sel_hi:[1,1,0] neg_lo:[0,0,1] neg_hi:[0,0,1]
	v_pk_fma_f32 v[44:45], v[44:45], v[20:21], v[58:59] op_sel:[0,0,1] op_sel_hi:[1,0,0]
	v_pk_fma_f32 v[58:59], v[40:41], v[28:29], v[60:61] op_sel:[0,0,1] op_sel_hi:[1,1,0] neg_lo:[0,0,1] neg_hi:[0,0,1]
	v_pk_fma_f32 v[40:41], v[40:41], v[28:29], v[60:61] op_sel:[0,0,1] op_sel_hi:[1,0,0]
	v_pk_mul_f32 v[60:61], v[42:43], v[62:63] op_sel_hi:[1,0]
	v_pk_fma_f32 v[62:63], v[52:53], v[24:25], v[68:69] op_sel:[0,0,1] op_sel_hi:[1,1,0] neg_lo:[0,0,1] neg_hi:[0,0,1]
	v_pk_fma_f32 v[52:53], v[52:53], v[24:25], v[68:69] op_sel:[0,0,1] op_sel_hi:[1,0,0]
	v_pk_mul_f32 v[68:69], v[54:55], v[70:71] op_sel_hi:[1,0]
	v_pk_mul_f32 v[70:71], v[46:47], v[72:73] op_sel_hi:[1,0]
	v_pk_fma_f32 v[72:73], v[48:49], v[16:17], v[74:75] op_sel:[0,0,1] op_sel_hi:[1,1,0] neg_lo:[0,0,1] neg_hi:[0,0,1]
	v_pk_fma_f32 v[48:49], v[48:49], v[16:17], v[74:75] op_sel:[0,0,1] op_sel_hi:[1,0,0]
	v_pk_mul_f32 v[74:75], v[50:51], v[76:77] op_sel_hi:[1,0]
	v_mov_b32_e32 v79, v45
	v_pk_fma_f32 v[44:45], v[42:43], v[30:31], v[60:61] op_sel:[0,0,1] op_sel_hi:[1,1,0] neg_lo:[0,0,1] neg_hi:[0,0,1]
	v_pk_fma_f32 v[42:43], v[42:43], v[30:31], v[60:61] op_sel:[0,0,1] op_sel_hi:[1,0,0]
	v_mov_b32_e32 v63, v53
	v_pk_fma_f32 v[52:53], v[54:55], v[26:27], v[68:69] op_sel:[0,0,1] op_sel_hi:[1,1,0] neg_lo:[0,0,1] neg_hi:[0,0,1]
	v_pk_fma_f32 v[54:55], v[54:55], v[26:27], v[68:69] op_sel:[0,0,1] op_sel_hi:[1,0,0]
	v_pk_fma_f32 v[60:61], v[46:47], v[22:23], v[70:71] op_sel:[0,0,1] op_sel_hi:[1,1,0] neg_lo:[0,0,1] neg_hi:[0,0,1]
	v_pk_fma_f32 v[46:47], v[46:47], v[22:23], v[70:71] op_sel:[0,0,1] op_sel_hi:[1,0,0]
	;; [unrolled: 2-line block ×3, first 2 shown]
	v_mov_b32_e32 v59, v41
	v_mov_b32_e32 v40, v41
	;; [unrolled: 1-line block ×14, first 2 shown]
	v_pk_add_f32 v[50:51], v[58:59], v[68:69]
	v_pk_add_f32 v[48:49], v[40:41], v[70:71] neg_lo:[0,1] neg_hi:[0,1]
	v_pk_add_f32 v[54:55], v[74:75], v[42:43] neg_lo:[0,1] neg_hi:[0,1]
	v_pk_add_f32 v[40:41], v[62:63], v[60:61] neg_lo:[0,1] neg_hi:[0,1]
	v_pk_add_f32 v[58:59], v[44:45], v[72:73]
	v_pk_mul_f32 v[70:71], v[40:41], s[18:19] op_sel_hi:[1,0]
	v_pk_mul_f32 v[40:41], v[54:55], s[24:25]
	v_pk_fma_f32 v[44:45], v[50:51], s[0:1], v[56:57] op_sel_hi:[1,0,1]
	v_pk_add_f32 v[72:73], v[62:63], v[60:61]
	v_pk_add_f32 v[60:61], v[52:53], v[78:79] neg_lo:[0,1] neg_hi:[0,1]
	v_pk_fma_f32 v[40:41], v[48:49], s[22:23], v[40:41]
	v_pk_fma_f32 v[44:45], v[58:59], s[6:7], v[44:45] op_sel_hi:[1,0,1]
	v_pk_add_f32 v[62:63], v[52:53], v[78:79]
	v_pk_mul_f32 v[42:43], v[60:61], s[16:17] op_sel_hi:[1,0]
	v_pk_add_f32 v[40:41], v[70:71], v[40:41] op_sel:[1,0] op_sel_hi:[0,1]
	v_pk_fma_f32 v[44:45], v[72:73], 0.5, v[44:45] op_sel_hi:[1,0,1] neg_lo:[1,0,0] neg_hi:[1,0,0]
	v_pk_add_f32 v[42:43], v[42:43], v[40:41] op_sel:[1,0] op_sel_hi:[0,1]
	v_pk_fma_f32 v[44:45], v[62:63], s[20:21], v[44:45] op_sel_hi:[1,0,1] neg_lo:[1,0,0] neg_hi:[1,0,0]
	v_mov_b32_e32 v74, v48
	v_pk_add_f32 v[40:41], v[44:45], v[42:43]
	v_pk_add_f32 v[46:47], v[44:45], v[42:43] neg_lo:[0,1] neg_hi:[0,1]
	v_mov_b32_e32 v75, v55
	v_mov_b32_e32 v46, v40
	;; [unrolled: 1-line block ×3, first 2 shown]
	v_fmac_f32_e32 v47, 2.0, v43
	v_fmac_f32_e32 v46, -2.0, v42
	v_pk_mul_f32 v[42:43], v[60:61], s[22:23] op_sel_hi:[1,0]
	v_mov_b32_e32 v76, v54
	v_pk_fma_f32 v[42:43], v[74:75], s[24:25], v[42:43] op_sel:[0,0,1] op_sel_hi:[1,0,0] neg_lo:[0,0,1] neg_hi:[0,0,1]
	v_mov_b32_e32 v77, v49
	v_pk_add_f32 v[42:43], v[42:43], v[70:71] op_sel:[0,1] op_sel_hi:[1,0] neg_lo:[0,1] neg_hi:[0,1]
	v_mov_b32_e32 v80, v55
	v_pk_fma_f32 v[68:69], v[76:77], s[16:17], v[42:43] op_sel_hi:[1,0,1]
	v_pk_fma_f32 v[42:43], v[62:63], s[0:1], v[56:57] op_sel_hi:[1,0,1]
	v_mov_b32_e32 v81, v48
	v_pk_fma_f32 v[42:43], v[50:51], s[6:7], v[42:43] op_sel_hi:[1,0,1]
	v_mov_b32_e32 v48, v49
	v_pk_fma_f32 v[42:43], v[72:73], 0.5, v[42:43] op_sel_hi:[1,0,1] neg_lo:[1,0,0] neg_hi:[1,0,0]
	v_mov_b32_e32 v49, v54
	v_pk_fma_f32 v[44:45], v[58:59], s[20:21], v[42:43] op_sel_hi:[1,0,1] neg_lo:[1,0,0] neg_hi:[1,0,0]
	v_pk_add_f32 v[80:81], v[60:61], v[80:81]
	v_pk_add_f32 v[42:43], v[44:45], v[68:69]
	v_pk_add_f32 v[44:45], v[44:45], v[68:69] neg_lo:[0,1] neg_hi:[0,1]
	v_pk_add_f32 v[48:49], v[80:81], v[48:49] neg_lo:[0,1] neg_hi:[0,1]
	v_mov_b32_e32 v44, v42
	v_mov_b32_e32 v43, v45
	v_fmac_f32_e32 v44, -2.0, v68
	v_fmac_f32_e32 v45, 2.0, v69
	v_pk_add_f32 v[68:69], v[58:59], v[50:51]
	v_pk_mul_f32 v[80:81], v[48:49], s[18:19] op_sel_hi:[1,0]
	v_pk_add_f32 v[54:55], v[62:63], v[68:69]
	v_pk_add_f32 v[68:69], v[68:69], v[72:73]
	s_mov_b32 s18, 0xbf248dbb
	v_pk_add_f32 v[52:53], v[52:53], v[68:69]
	v_pk_add_f32 v[48:49], v[72:73], v[56:57]
	;; [unrolled: 1-line block ×3, first 2 shown]
	v_pk_fma_f32 v[54:55], v[54:55], 0.5, v[48:49] op_sel_hi:[1,0,1] neg_lo:[1,0,0] neg_hi:[1,0,0]
	v_pk_add_f32 v[68:69], v[52:53], v[56:57]
	v_pk_mul_f32 v[52:53], v[60:61], s[24:25] op_sel_hi:[1,0]
	v_pk_add_f32 v[48:49], v[54:55], v[80:81] op_sel:[0,1] op_sel_hi:[1,0]
	v_pk_fma_f32 v[52:53], v[76:77], s[18:19], v[52:53] op_sel:[0,0,1] op_sel_hi:[1,0,0] neg_lo:[0,0,1] neg_hi:[0,0,1]
	v_pk_add_f32 v[54:55], v[54:55], v[80:81] op_sel:[0,1] op_sel_hi:[1,0] neg_lo:[0,1] neg_hi:[0,1]
	v_pk_add_f32 v[52:53], v[70:71], v[52:53] op_sel:[1,0] op_sel_hi:[0,1]
	v_pk_fma_f32 v[60:61], v[74:75], s[16:17], v[52:53] op_sel_hi:[1,0,1]
	v_pk_fma_f32 v[52:53], v[58:59], s[0:1], v[56:57] op_sel_hi:[1,0,1]
	v_mov_b32_e32 v54, v48
	v_pk_fma_f32 v[52:53], v[62:63], s[6:7], v[52:53] op_sel_hi:[1,0,1]
	v_mov_b32_e32 v49, v55
	v_pk_fma_f32 v[52:53], v[72:73], 0.5, v[52:53] op_sel_hi:[1,0,1] neg_lo:[1,0,0] neg_hi:[1,0,0]
	v_fmac_f32_e32 v54, -2.0, v81
	v_pk_fma_f32 v[52:53], v[50:51], s[20:21], v[52:53] op_sel_hi:[1,0,1] neg_lo:[1,0,0] neg_hi:[1,0,0]
	v_fmac_f32_e32 v55, 2.0, v80
	v_pk_add_f32 v[50:51], v[52:53], v[60:61]
	v_pk_add_f32 v[52:53], v[52:53], v[60:61] neg_lo:[0,1] neg_hi:[0,1]
	v_add_u32_e32 v58, 0x400, v124
	v_mov_b32_e32 v52, v50
	v_mov_b32_e32 v51, v53
	v_fmac_f32_e32 v52, -2.0, v60
	v_fmac_f32_e32 v53, 2.0, v61
	v_add_u32_e32 v57, 0x800, v124
	v_add_u32_e32 v56, 0xc00, v124
	ds_write_b64 v124, v[68:69]
	ds_write2_b64 v124, v[40:41], v[42:43] offset0:65 offset1:130
	ds_write2_b64 v58, v[48:49], v[50:51] offset0:67 offset1:132
	;; [unrolled: 1-line block ×4, first 2 shown]
	s_waitcnt lgkmcnt(0)
	s_barrier
	s_and_saveexec_b64 s[0:1], s[4:5]
	s_cbranch_execz .LBB0_13
; %bb.12:
	v_mov_b32_e32 v65, 0
	v_lshl_add_u64 v[70:71], s[12:13], 0, v[64:65]
	v_add_co_u32_e32 v62, vcc, 0x1000, v70
	ds_read_b64 v[60:61], v124
	s_nop 0
	v_addc_co_u32_e32 v63, vcc, 0, v71, vcc
	global_load_dwordx2 v[62:63], v[62:63], off offset:584
	s_mov_b64 s[6:7], 0x1248
	v_lshl_add_u64 v[72:73], v[70:71], 0, s[6:7]
	s_waitcnt vmcnt(0) lgkmcnt(0)
	v_mul_f32_e32 v59, v61, v63
	v_mul_f32_e32 v75, v60, v63
	v_fma_f32 v74, v60, v62, -v59
	v_fmac_f32_e32 v75, v61, v62
	ds_write_b64 v124, v[74:75]
	global_load_dwordx2 v[74:75], v[72:73], off offset:360
	ds_read2_b64 v[60:63], v124 offset0:45 offset1:90
	s_waitcnt vmcnt(0) lgkmcnt(0)
	v_mul_f32_e32 v59, v61, v75
	v_mul_f32_e32 v77, v60, v75
	v_fma_f32 v76, v60, v74, -v59
	v_fmac_f32_e32 v77, v61, v74
	global_load_dwordx2 v[60:61], v[72:73], off offset:720
	s_waitcnt vmcnt(0)
	v_mul_f32_e32 v59, v63, v61
	v_mul_f32_e32 v75, v62, v61
	v_fma_f32 v74, v62, v60, -v59
	v_fmac_f32_e32 v75, v63, v60
	ds_write2_b64 v124, v[76:77], v[74:75] offset0:45 offset1:90
	global_load_dwordx2 v[74:75], v[72:73], off offset:1080
	ds_read2_b64 v[60:63], v124 offset0:135 offset1:180
	s_waitcnt vmcnt(0) lgkmcnt(0)
	v_mul_f32_e32 v59, v61, v75
	v_mul_f32_e32 v77, v60, v75
	v_fma_f32 v76, v60, v74, -v59
	v_fmac_f32_e32 v77, v61, v74
	global_load_dwordx2 v[60:61], v[72:73], off offset:1440
	s_waitcnt vmcnt(0)
	v_mul_f32_e32 v59, v63, v61
	v_mul_f32_e32 v75, v62, v61
	v_fma_f32 v74, v62, v60, -v59
	v_fmac_f32_e32 v75, v63, v60
	ds_write2_b64 v124, v[76:77], v[74:75] offset0:135 offset1:180
	global_load_dwordx2 v[74:75], v[72:73], off offset:1800
	ds_read2_b64 v[60:63], v58 offset0:97 offset1:142
	s_waitcnt vmcnt(0) lgkmcnt(0)
	v_mul_f32_e32 v59, v61, v75
	v_mul_f32_e32 v77, v60, v75
	v_fma_f32 v76, v60, v74, -v59
	v_fmac_f32_e32 v77, v61, v74
	global_load_dwordx2 v[60:61], v[72:73], off offset:2160
	s_waitcnt vmcnt(0)
	v_mul_f32_e32 v59, v63, v61
	v_mul_f32_e32 v75, v62, v61
	v_fma_f32 v74, v62, v60, -v59
	v_fmac_f32_e32 v75, v63, v60
	global_load_dwordx2 v[62:63], v[72:73], off offset:2520
	ds_write2_b64 v58, v[76:77], v[74:75] offset0:97 offset1:142
	ds_read2_b64 v[58:61], v57 offset0:59 offset1:104
	s_waitcnt vmcnt(0) lgkmcnt(0)
	v_mul_f32_e32 v65, v59, v63
	v_mul_f32_e32 v75, v58, v63
	v_fma_f32 v74, v58, v62, -v65
	v_fmac_f32_e32 v75, v59, v62
	global_load_dwordx2 v[58:59], v[72:73], off offset:2880
	s_waitcnt vmcnt(0)
	v_mul_f32_e32 v62, v61, v59
	v_mul_f32_e32 v63, v60, v59
	v_fma_f32 v62, v60, v58, -v62
	v_fmac_f32_e32 v63, v61, v58
	ds_write2_b64 v57, v[74:75], v[62:63] offset0:59 offset1:104
	global_load_dwordx2 v[62:63], v[72:73], off offset:3240
	ds_read2_b64 v[58:61], v57 offset0:149 offset1:194
	s_waitcnt vmcnt(0) lgkmcnt(0)
	v_mul_f32_e32 v65, v59, v63
	v_mul_f32_e32 v75, v58, v63
	v_fma_f32 v74, v58, v62, -v65
	v_fmac_f32_e32 v75, v59, v62
	global_load_dwordx2 v[58:59], v[72:73], off offset:3600
	s_waitcnt vmcnt(0)
	v_mul_f32_e32 v62, v61, v59
	v_mul_f32_e32 v63, v60, v59
	v_fma_f32 v62, v60, v58, -v62
	v_fmac_f32_e32 v63, v61, v58
	ds_write2_b64 v57, v[74:75], v[62:63] offset0:149 offset1:194
	global_load_dwordx2 v[62:63], v[72:73], off offset:3960
	ds_read2_b64 v[58:61], v56 offset0:111 offset1:156
	s_waitcnt vmcnt(0) lgkmcnt(0)
	v_mul_f32_e32 v57, v59, v63
	v_fma_f32 v72, v58, v62, -v57
	v_mul_f32_e32 v73, v58, v63
	v_add_co_u32_e32 v58, vcc, 0x2000, v70
	v_fmac_f32_e32 v73, v59, v62
	s_nop 0
	v_addc_co_u32_e32 v59, vcc, 0, v71, vcc
	global_load_dwordx2 v[58:59], v[58:59], off offset:808
	s_waitcnt vmcnt(0)
	v_mul_f32_e32 v57, v61, v59
	v_mul_f32_e32 v63, v60, v59
	v_fma_f32 v62, v60, v58, -v57
	v_fmac_f32_e32 v63, v61, v58
	ds_write2_b64 v56, v[72:73], v[62:63] offset0:111 offset1:156
.LBB0_13:
	s_or_b64 exec, exec, s[0:1]
	s_waitcnt lgkmcnt(0)
	s_barrier
	s_and_saveexec_b64 s[0:1], s[4:5]
	s_cbranch_execz .LBB0_15
; %bb.14:
	v_add_u32_e32 v32, 0x400, v124
	ds_read_b64 v[68:69], v124
	ds_read2_b64 v[40:43], v124 offset0:45 offset1:90
	ds_read2_b64 v[48:51], v124 offset0:135 offset1:180
	;; [unrolled: 1-line block ×3, first 2 shown]
	v_add_u32_e32 v44, 0x800, v124
	v_add_u32_e32 v32, 0xc00, v124
	ds_read2_b64 v[32:35], v32 offset0:111 offset1:156
	ds_read2_b64 v[36:39], v44 offset0:149 offset1:194
	;; [unrolled: 1-line block ×3, first 2 shown]
.LBB0_15:
	s_or_b64 exec, exec, s[0:1]
	s_waitcnt lgkmcnt(2)
	v_pk_add_f32 v[60:61], v[40:41], v[34:35] neg_lo:[0,1] neg_hi:[0,1]
	v_pk_add_f32 v[106:107], v[40:41], v[34:35]
	s_mov_b32 s18, 0xbf3f9e67
	v_mov_b32_e32 v72, v106
	v_mov_b32_e32 v106, v61
	v_pk_add_f32 v[62:63], v[42:43], v[32:33] neg_lo:[0,1] neg_hi:[0,1]
	v_pk_add_f32 v[104:105], v[42:43], v[32:33]
	s_mov_b32 s21, 0xbeb58ec6
	s_mov_b32 s20, 0xbf6f5d39
	;; [unrolled: 1-line block ×3, first 2 shown]
	v_mov_b32_e32 v73, v60
	v_mov_b32_e32 v74, v104
	;; [unrolled: 1-line block ×3, first 2 shown]
	v_pk_mul_f32 v[78:79], v[106:107], s[20:21]
	s_mov_b32 s0, s21
	s_mov_b32 s1, s20
	;; [unrolled: 1-line block ×5, first 2 shown]
	v_mov_b32_e32 v75, v62
	s_waitcnt lgkmcnt(1)
	v_pk_add_f32 v[126:127], v[48:49], v[38:39] neg_lo:[0,1] neg_hi:[0,1]
	v_pk_add_f32 v[56:57], v[48:49], v[38:39]
	v_pk_fma_f32 v[58:59], v[72:73], s[0:1], v[78:79] neg_lo:[0,0,1] neg_hi:[0,0,1]
	v_pk_fma_f32 v[80:81], v[72:73], s[0:1], v[78:79]
	v_pk_mul_f32 v[88:89], v[104:105], s[6:7]
	s_mov_b32 s23, 0x3eedf032
	v_mov_b32_e32 v102, v127
	v_mov_b32_e32 v103, v57
	;; [unrolled: 1-line block ×3, first 2 shown]
	v_pk_fma_f32 v[70:71], v[74:75], s[18:19], v[88:89] neg_lo:[0,0,1] neg_hi:[0,0,1]
	v_pk_fma_f32 v[90:91], v[74:75], s[18:19], v[88:89]
	s_mov_b32 s34, s23
	s_mov_b32 s35, s22
	v_mov_b32_e32 v76, v56
	v_mov_b32_e32 v77, v126
	v_pk_add_f32 v[58:59], v[68:69], v[58:59]
	v_mov_b32_e32 v71, v91
	v_pk_mul_f32 v[98:99], v[102:103], s[34:35]
	v_pk_add_f32 v[58:59], v[70:71], v[58:59]
	v_pk_fma_f32 v[70:71], v[76:77], s[22:23], v[98:99] neg_lo:[0,0,1] neg_hi:[0,0,1]
	v_pk_fma_f32 v[100:101], v[76:77], s[22:23], v[98:99]
	v_pk_add_f32 v[96:97], v[50:51], v[36:37] neg_lo:[0,1] neg_hi:[0,1]
	v_mov_b32_e32 v71, v101
	s_mov_b32 s28, 0xbf7e222b
	v_pk_add_f32 v[94:95], v[36:37], v[50:51]
	v_pk_add_f32 v[58:59], v[70:71], v[58:59]
	s_mov_b32 s6, 0x3df6dbef
	v_pk_mul_f32 v[70:71], v[96:97], s[28:29] op_sel_hi:[1,0]
	s_mov_b32 s30, 0xbe750f2a
	v_pk_fma_f32 v[108:109], v[94:95], s[6:7], v[70:71] op_sel:[0,0,1] op_sel_hi:[1,0,0] neg_lo:[0,0,1] neg_hi:[0,0,1]
	v_pk_fma_f32 v[110:111], v[94:95], s[6:7], v[70:71] op_sel:[0,0,1] op_sel_hi:[1,0,0]
	s_waitcnt lgkmcnt(0)
	v_pk_add_f32 v[92:93], v[52:53], v[46:47] neg_lo:[0,1] neg_hi:[0,1]
	v_mov_b32_e32 v70, v108
	v_mov_b32_e32 v71, v111
	s_mov_b32 s31, 0xbf788fa5
	s_mov_b32 s36, 0x3e750f2a
	v_pk_add_f32 v[86:87], v[46:47], v[52:53]
	v_pk_add_f32 v[58:59], v[70:71], v[58:59]
	s_mov_b32 s24, s31
	v_pk_mul_f32 v[70:71], v[92:93], s[36:37] op_sel_hi:[1,0]
	v_pk_add_f32 v[84:85], v[54:55], v[44:45] neg_lo:[0,1] neg_hi:[0,1]
	v_pk_fma_f32 v[112:113], v[86:87], s[24:25], v[70:71] op_sel:[0,0,1] op_sel_hi:[1,0,0] neg_lo:[0,0,1] neg_hi:[0,0,1]
	v_pk_fma_f32 v[114:115], v[86:87], s[24:25], v[70:71] op_sel:[0,0,1] op_sel_hi:[1,0,0]
	v_mov_b32_e32 v70, v112
	v_mov_b32_e32 v71, v115
	s_mov_b32 s38, 0x3f52af12
	v_pk_add_f32 v[82:83], v[44:45], v[54:55]
	v_pk_add_f32 v[58:59], v[70:71], v[58:59]
	s_mov_b32 s16, 0x3f116cb1
	v_pk_mul_f32 v[70:71], v[84:85], s[38:39] op_sel_hi:[1,0]
	v_pk_mul_f32 v[132:133], v[96:97], s[36:37] op_sel_hi:[1,0]
	s_mov_b32 s36, 0xbf29c268
	s_mov_b32 s37, s18
	v_pk_fma_f32 v[116:117], v[82:83], s[16:17], v[70:71] op_sel:[0,0,1] op_sel_hi:[1,0,0] neg_lo:[0,0,1] neg_hi:[0,0,1]
	v_pk_fma_f32 v[118:119], v[82:83], s[16:17], v[70:71] op_sel:[0,0,1] op_sel_hi:[1,0,0]
	v_pk_mul_f32 v[144:145], v[106:107], s[36:37]
	s_mov_b32 s42, s18
	s_mov_b32 s43, s36
	;; [unrolled: 1-line block ×4, first 2 shown]
	v_mov_b32_e32 v70, v116
	v_mov_b32_e32 v71, v119
	s_mov_b32 s26, 0xbf52af12
	v_pk_fma_f32 v[146:147], v[72:73], s[42:43], v[144:145]
	v_pk_fma_f32 v[148:149], v[72:73], s[42:43], v[144:145] neg_lo:[0,0,1] neg_hi:[0,0,1]
	v_pk_mul_f32 v[150:151], v[104:105], s[40:41]
	s_mov_b32 s7, s40
	v_pk_add_f32 v[58:59], v[70:71], v[58:59]
	v_pk_mul_f32 v[70:71], v[126:127], s[26:27] op_sel:[1,0] op_sel_hi:[0,0]
	v_mov_b32_e32 v149, v147
	v_pk_fma_f32 v[152:153], v[74:75], s[6:7], v[150:151]
	v_pk_fma_f32 v[154:155], v[74:75], s[6:7], v[150:151] neg_lo:[0,0,1] neg_hi:[0,0,1]
	v_pk_fma_f32 v[144:145], v[72:73], s[42:43], v[144:145] neg_lo:[1,0,0] neg_hi:[1,0,0]
	v_pk_fma_f32 v[130:131], v[56:57], s[16:17], v[70:71] op_sel_hi:[1,0,1]
	v_pk_fma_f32 v[56:57], v[56:57], s[16:17], v[70:71] op_sel_hi:[1,0,1] neg_lo:[0,0,1] neg_hi:[0,0,1]
	v_pk_fma_f32 v[134:135], v[94:95], s[24:25], v[132:133] op_sel:[0,0,1] op_sel_hi:[1,0,0]
	v_pk_fma_f32 v[132:133], v[94:95], s[24:25], v[132:133] op_sel:[0,0,1] op_sel_hi:[1,0,0] neg_lo:[0,0,1] neg_hi:[0,0,1]
	s_mov_b32 s24, s23
	v_pk_add_f32 v[148:149], v[68:69], v[148:149]
	v_mov_b32_e32 v155, v153
	v_mov_b32_e32 v147, v145
	v_pk_fma_f32 v[150:151], v[74:75], s[6:7], v[150:151] neg_lo:[1,0,0] neg_hi:[1,0,0]
	v_mov_b32_e32 v71, v57
	v_pk_mul_f32 v[138:139], v[92:93], s[24:25] op_sel_hi:[1,0]
	v_pk_add_f32 v[148:149], v[154:155], v[148:149]
	v_mov_b32_e32 v153, v151
	v_pk_add_f32 v[146:147], v[68:69], v[146:147]
	v_mov_b32_e32 v57, v131
	s_mov_b32 s24, s31
	s_mov_b32 s25, s30
	v_mov_b32_e32 v70, v130
	v_mov_b32_e32 v137, v133
	v_pk_add_f32 v[146:147], v[152:153], v[146:147]
	v_pk_add_f32 v[56:57], v[56:57], v[148:149]
	v_mov_b32_e32 v133, v135
	v_pk_mul_f32 v[130:131], v[72:73], s[24:25]
	v_mov_b32_e32 v136, v134
	v_pk_add_f32 v[70:71], v[70:71], v[146:147]
	v_pk_add_f32 v[56:57], v[132:133], v[56:57]
	v_pk_fma_f32 v[60:61], v[60:61], s[30:31], v[130:131] op_sel:[1,0,0] neg_lo:[1,0,0] neg_hi:[1,0,0]
	v_pk_fma_f32 v[132:133], v[106:107], s[30:31], v[130:131]
	v_pk_mul_f32 v[134:135], v[74:75], s[22:23]
	v_pk_add_f32 v[70:71], v[136:137], v[70:71]
	v_mov_b32_e32 v61, v133
	v_pk_fma_f32 v[62:63], v[62:63], s[34:35], v[134:135] op_sel:[1,0,0] neg_lo:[1,0,0] neg_hi:[1,0,0]
	v_pk_fma_f32 v[136:137], v[104:105], s[34:35], v[134:135]
	v_pk_fma_f32 v[140:141], v[86:87], s[22:23], v[138:139] op_sel:[0,0,1] op_sel_hi:[1,0,0]
	v_pk_fma_f32 v[138:139], v[86:87], s[22:23], v[138:139] op_sel:[0,0,1] op_sel_hi:[1,0,0] neg_lo:[0,0,1] neg_hi:[0,0,1]
	v_pk_add_f32 v[60:61], v[68:69], v[60:61]
	v_mov_b32_e32 v63, v137
	v_mov_b32_e32 v155, v139
	;; [unrolled: 1-line block ×3, first 2 shown]
	v_pk_add_f32 v[60:61], v[62:63], v[60:61]
	v_pk_mul_f32 v[62:63], v[76:77], s[42:43]
	v_pk_add_f32 v[56:57], v[138:139], v[56:57]
	v_pk_fma_f32 v[126:127], v[126:127], s[36:37], v[62:63] op_sel:[1,0,0] neg_lo:[1,0,0] neg_hi:[1,0,0]
	v_pk_fma_f32 v[138:139], v[102:103], s[36:37], v[62:63]
	s_mov_b32 s44, s21
	v_pk_mul_f32 v[144:145], v[84:85], s[20:21] op_sel_hi:[1,0]
	v_mov_b32_e32 v127, v139
	v_pk_fma_f32 v[150:151], v[82:83], s[44:45], v[144:145] op_sel:[0,0,1] op_sel_hi:[1,0,0]
	v_pk_fma_f32 v[144:145], v[82:83], s[44:45], v[144:145] op_sel:[0,0,1] op_sel_hi:[1,0,0] neg_lo:[0,0,1] neg_hi:[0,0,1]
	v_pk_add_f32 v[60:61], v[126:127], v[60:61]
	v_pk_mul_f32 v[126:127], v[96:97], s[38:39] op_sel_hi:[1,0]
	v_mov_b32_e32 v154, v140
	v_mov_b32_e32 v153, v145
	;; [unrolled: 1-line block ×3, first 2 shown]
	v_pk_fma_f32 v[140:141], v[94:95], s[16:17], v[126:127] op_sel:[0,0,1] op_sel_hi:[1,0,0] neg_lo:[0,0,1] neg_hi:[0,0,1]
	v_pk_fma_f32 v[126:127], v[94:95], s[16:17], v[126:127] op_sel:[0,0,1] op_sel_hi:[1,0,0]
	v_pk_fma_f32 v[130:131], v[106:107], s[30:31], v[130:131] neg_lo:[0,0,1] neg_hi:[0,0,1]
	v_pk_add_f32 v[56:57], v[144:145], v[56:57]
	v_mov_b32_e32 v144, v140
	v_mov_b32_e32 v145, v127
	;; [unrolled: 1-line block ×3, first 2 shown]
	v_pk_add_f32 v[60:61], v[144:145], v[60:61]
	v_pk_mul_f32 v[144:145], v[92:93], s[20:21] op_sel_hi:[1,0]
	v_pk_add_f32 v[130:131], v[68:69], v[132:133]
	v_pk_fma_f32 v[132:133], v[104:105], s[34:35], v[134:135] neg_lo:[0,0,1] neg_hi:[0,0,1]
	v_pk_fma_f32 v[146:147], v[86:87], s[44:45], v[144:145] op_sel:[0,0,1] op_sel_hi:[1,0,0] neg_lo:[0,0,1] neg_hi:[0,0,1]
	v_pk_fma_f32 v[144:145], v[86:87], s[44:45], v[144:145] op_sel:[0,0,1] op_sel_hi:[1,0,0]
	v_mov_b32_e32 v137, v133
	v_pk_fma_f32 v[62:63], v[102:103], s[36:37], v[62:63] neg_lo:[0,0,1] neg_hi:[0,0,1]
	v_mov_b32_e32 v148, v146
	v_mov_b32_e32 v149, v145
	v_pk_add_f32 v[130:131], v[136:137], v[130:131]
	v_mov_b32_e32 v139, v63
	v_pk_add_f32 v[148:149], v[148:149], v[60:61]
	v_pk_mul_f32 v[60:61], v[84:85], s[40:41] op_sel_hi:[1,0]
	v_pk_add_f32 v[62:63], v[138:139], v[130:131]
	v_mov_b32_e32 v127, v141
	v_pk_add_f32 v[62:63], v[126:127], v[62:63]
	v_mov_b32_e32 v145, v147
	v_pk_fma_f32 v[126:127], v[82:83], s[6:7], v[60:61] op_sel:[0,0,1] op_sel_hi:[1,0,0]
	v_pk_fma_f32 v[130:131], v[82:83], s[6:7], v[60:61] op_sel:[0,0,1] op_sel_hi:[1,0,0] neg_lo:[0,0,1] neg_hi:[0,0,1]
	v_mov_b32_e32 v152, v150
	v_pk_add_f32 v[70:71], v[154:155], v[70:71]
	v_pk_add_f32 v[62:63], v[144:145], v[62:63]
	v_mov_b32_e32 v60, v126
	v_mov_b32_e32 v61, v131
	;; [unrolled: 1-line block ×3, first 2 shown]
	v_pk_add_f32 v[70:71], v[152:153], v[70:71]
	v_pk_add_f32 v[60:61], v[60:61], v[62:63]
	;; [unrolled: 1-line block ×3, first 2 shown]
	s_barrier
	s_and_saveexec_b64 s[34:35], s[4:5]
	s_cbranch_execz .LBB0_17
; %bb.16:
	v_pk_add_f32 v[40:41], v[40:41], v[68:69]
	s_mov_b32 s39, 0xbeedf032
	v_pk_add_f32 v[40:41], v[42:43], v[40:41]
	s_mov_b32 s42, s39
	;; [unrolled: 2-line block ×8, first 2 shown]
	v_pk_add_f32 v[36:37], v[36:37], v[40:41]
	v_pk_mul_f32 v[40:41], v[104:105], s[26:27]
	v_pk_add_f32 v[36:37], v[38:39], v[36:37]
	v_pk_fma_f32 v[42:43], v[74:75], s[16:17], v[40:41]
	v_pk_add_f32 v[32:33], v[32:33], v[36:37]
	v_pk_fma_f32 v[44:45], v[74:75], s[16:17], v[40:41] neg_lo:[1,0,0] neg_hi:[1,0,0]
	v_pk_add_f32 v[32:33], v[34:35], v[32:33]
	v_pk_mul_f32 v[34:35], v[106:107], s[42:43]
	v_mov_b32_e32 v44, v42
	v_pk_fma_f32 v[36:37], v[72:73], s[38:39], v[34:35]
	v_pk_fma_f32 v[38:39], v[72:73], s[38:39], v[34:35] neg_lo:[1,0,0] neg_hi:[1,0,0]
	s_mov_b32 s42, s21
	v_mov_b32_e32 v38, v36
	v_pk_add_f32 v[38:39], v[68:69], v[38:39]
	v_lshl_add_u32 v65, v128, 3, v142
	v_pk_add_f32 v[38:39], v[44:45], v[38:39]
	v_pk_mul_f32 v[44:45], v[102:103], s[28:29]
	v_pk_mul_f32 v[138:139], v[104:105], s[20:21]
	v_pk_fma_f32 v[46:47], v[76:77], s[6:7], v[44:45]
	v_pk_fma_f32 v[48:49], v[76:77], s[6:7], v[44:45] neg_lo:[1,0,0] neg_hi:[1,0,0]
	v_pk_fma_f32 v[140:141], v[74:75], s[0:1], v[138:139]
	v_mov_b32_e32 v48, v46
	v_pk_add_f32 v[38:39], v[48:49], v[38:39]
	v_pk_mul_f32 v[48:49], v[96:97], s[20:21] op_sel_hi:[1,0]
	v_pk_fma_f32 v[144:145], v[74:75], s[0:1], v[138:139] neg_lo:[1,0,0] neg_hi:[1,0,0]
	v_pk_fma_f32 v[50:51], v[94:95], s[42:43], v[48:49] op_sel:[0,0,1] op_sel_hi:[1,0,0]
	v_pk_fma_f32 v[48:49], v[94:95], s[42:43], v[48:49] op_sel:[0,0,1] op_sel_hi:[1,0,0] neg_lo:[0,0,1] neg_hi:[0,0,1]
	v_mov_b32_e32 v52, v50
	v_mov_b32_e32 v53, v49
	v_pk_add_f32 v[38:39], v[52:53], v[38:39]
	v_pk_mul_f32 v[52:53], v[92:93], s[36:37] op_sel_hi:[1,0]
	s_mov_b32 s42, s31
	v_pk_fma_f32 v[54:55], v[86:87], s[18:19], v[52:53] op_sel:[0,0,1] op_sel_hi:[1,0,0]
	v_pk_fma_f32 v[52:53], v[86:87], s[18:19], v[52:53] op_sel:[0,0,1] op_sel_hi:[1,0,0] neg_lo:[0,0,1] neg_hi:[0,0,1]
	v_mov_b32_e32 v128, v54
	v_mov_b32_e32 v129, v53
	v_pk_add_f32 v[38:39], v[128:129], v[38:39]
	v_pk_mul_f32 v[128:129], v[84:85], s[30:31] op_sel_hi:[1,0]
	v_mov_b32_e32 v144, v140
	v_pk_fma_f32 v[134:135], v[82:83], s[42:43], v[128:129] op_sel:[0,0,1] op_sel_hi:[1,0,0]
	v_pk_fma_f32 v[128:129], v[82:83], s[42:43], v[128:129] op_sel:[0,0,1] op_sel_hi:[1,0,0] neg_lo:[0,0,1] neg_hi:[0,0,1]
	v_mov_b32_e32 v136, v134
	v_mov_b32_e32 v137, v129
	v_pk_add_f32 v[38:39], v[136:137], v[38:39]
	ds_write2_b64 v65, v[32:33], v[38:39] offset1:1
	v_pk_mul_f32 v[32:33], v[106:107], s[26:27]
	s_mov_b32 s20, s19
	v_pk_fma_f32 v[38:39], v[72:73], s[16:17], v[32:33]
	v_pk_fma_f32 v[136:137], v[72:73], s[16:17], v[32:33] neg_lo:[1,0,0] neg_hi:[1,0,0]
	v_pk_mul_f32 v[106:107], v[106:107], s[28:29]
	v_mov_b32_e32 v136, v38
	v_pk_add_f32 v[136:137], v[68:69], v[136:137]
	v_pk_fma_f32 v[162:163], v[72:73], s[6:7], v[106:107] neg_lo:[1,0,0] neg_hi:[1,0,0]
	v_pk_add_f32 v[136:137], v[144:145], v[136:137]
	v_pk_mul_f32 v[144:145], v[102:103], s[30:31]
	v_pk_mul_f32 v[104:105], v[104:105], s[30:31]
	v_pk_fma_f32 v[146:147], v[76:77], s[24:25], v[144:145]
	v_pk_fma_f32 v[148:149], v[76:77], s[24:25], v[144:145] neg_lo:[1,0,0] neg_hi:[1,0,0]
	s_mov_b32 s29, 0x3f6f5d39
	v_mov_b32_e32 v148, v146
	v_pk_add_f32 v[136:137], v[148:149], v[136:137]
	v_pk_mul_f32 v[148:149], v[96:97], s[20:21] op_sel_hi:[1,0]
	v_pk_fma_f32 v[164:165], v[74:75], s[24:25], v[104:105]
	v_pk_fma_f32 v[150:151], v[94:95], s[18:19], v[148:149] op_sel:[0,0,1] op_sel_hi:[1,0,0]
	v_pk_fma_f32 v[148:149], v[94:95], s[18:19], v[148:149] op_sel:[0,0,1] op_sel_hi:[1,0,0] neg_lo:[0,0,1] neg_hi:[0,0,1]
	v_mov_b32_e32 v152, v150
	v_mov_b32_e32 v153, v149
	v_pk_add_f32 v[136:137], v[152:153], v[136:137]
	v_pk_mul_f32 v[152:153], v[92:93], s[40:41] op_sel_hi:[1,0]
	s_mov_b32 s40, s23
	v_pk_fma_f32 v[154:155], v[86:87], s[6:7], v[152:153] op_sel:[0,0,1] op_sel_hi:[1,0,0]
	v_pk_fma_f32 v[152:153], v[86:87], s[6:7], v[152:153] op_sel:[0,0,1] op_sel_hi:[1,0,0] neg_lo:[0,0,1] neg_hi:[0,0,1]
	v_mov_b32_e32 v156, v154
	v_mov_b32_e32 v157, v153
	v_pk_add_f32 v[136:137], v[156:157], v[136:137]
	v_pk_mul_f32 v[156:157], v[84:85], s[40:41] op_sel_hi:[1,0]
	v_pk_fma_f32 v[166:167], v[74:75], s[24:25], v[104:105] neg_lo:[1,0,0] neg_hi:[1,0,0]
	v_pk_fma_f32 v[158:159], v[82:83], s[22:23], v[156:157] op_sel:[0,0,1] op_sel_hi:[1,0,0]
	v_pk_fma_f32 v[156:157], v[82:83], s[22:23], v[156:157] op_sel:[0,0,1] op_sel_hi:[1,0,0] neg_lo:[0,0,1] neg_hi:[0,0,1]
	v_mov_b32_e32 v160, v158
	v_mov_b32_e32 v161, v157
	v_pk_add_f32 v[136:137], v[160:161], v[136:137]
	v_pk_fma_f32 v[160:161], v[72:73], s[6:7], v[106:107]
	s_mov_b32 s20, s29
	v_mov_b32_e32 v162, v160
	v_pk_mul_f32 v[126:127], v[72:73], s[0:1]
	v_pk_add_f32 v[162:163], v[68:69], v[162:163]
	v_mov_b32_e32 v166, v164
	s_mov_b32 s28, s21
	v_pk_mul_f32 v[102:103], v[102:103], s[20:21]
	v_pk_add_f32 v[162:163], v[166:167], v[162:163]
	v_pk_fma_f32 v[166:167], v[76:77], s[28:29], v[102:103]
	v_pk_fma_f32 v[168:169], v[76:77], s[28:29], v[102:103] neg_lo:[1,0,0] neg_hi:[1,0,0]
	v_pk_add_f32 v[78:79], v[78:79], v[126:127] neg_lo:[0,1] neg_hi:[0,1]
	v_pk_mul_f32 v[130:131], v[74:75], s[18:19]
	v_mov_b32_e32 v168, v166
	v_pk_mul_f32 v[96:97], v[96:97], s[40:41] op_sel_hi:[1,0]
	v_mov_b32_e32 v81, v79
	v_pk_mul_f32 v[132:133], v[76:77], s[22:23]
	v_pk_add_f32 v[162:163], v[168:169], v[162:163]
	v_pk_fma_f32 v[168:169], v[94:95], s[22:23], v[96:97] op_sel:[0,0,1] op_sel_hi:[1,0,0]
	v_pk_fma_f32 v[94:95], v[94:95], s[22:23], v[96:97] op_sel:[0,0,1] op_sel_hi:[1,0,0] neg_lo:[0,0,1] neg_hi:[0,0,1]
	v_pk_add_f32 v[78:79], v[68:69], v[80:81]
	v_pk_add_f32 v[80:81], v[88:89], v[130:131] neg_lo:[0,1] neg_hi:[0,1]
	v_mov_b32_e32 v96, v168
	v_mov_b32_e32 v97, v95
	v_pk_mul_f32 v[92:93], v[92:93], s[26:27] op_sel_hi:[1,0]
	v_mov_b32_e32 v91, v81
	v_pk_add_f32 v[80:81], v[98:99], v[132:133] neg_lo:[0,1] neg_hi:[0,1]
	v_pk_add_f32 v[96:97], v[96:97], v[162:163]
	v_pk_fma_f32 v[162:163], v[86:87], s[16:17], v[92:93] op_sel:[0,0,1] op_sel_hi:[1,0,0]
	v_pk_fma_f32 v[86:87], v[86:87], s[16:17], v[92:93] op_sel:[0,0,1] op_sel_hi:[1,0,0] neg_lo:[0,0,1] neg_hi:[0,0,1]
	v_pk_add_f32 v[78:79], v[90:91], v[78:79]
	v_mov_b32_e32 v101, v81
	v_mov_b32_e32 v92, v162
	;; [unrolled: 1-line block ×3, first 2 shown]
	v_pk_mul_f32 v[84:85], v[84:85], s[36:37] op_sel_hi:[1,0]
	v_pk_add_f32 v[78:79], v[100:101], v[78:79]
	v_mov_b32_e32 v111, v109
	v_pk_add_f32 v[92:93], v[92:93], v[96:97]
	v_pk_fma_f32 v[96:97], v[82:83], s[18:19], v[84:85] op_sel:[0,0,1] op_sel_hi:[1,0,0]
	v_pk_fma_f32 v[82:83], v[82:83], s[18:19], v[84:85] op_sel:[0,0,1] op_sel_hi:[1,0,0] neg_lo:[0,0,1] neg_hi:[0,0,1]
	v_pk_add_f32 v[78:79], v[110:111], v[78:79]
	v_mov_b32_e32 v115, v113
	v_mov_b32_e32 v84, v96
	;; [unrolled: 1-line block ×3, first 2 shown]
	v_pk_add_f32 v[78:79], v[114:115], v[78:79]
	v_mov_b32_e32 v119, v117
	v_pk_add_f32 v[84:85], v[84:85], v[92:93]
	v_pk_add_f32 v[78:79], v[118:119], v[78:79]
	ds_write2_b64 v65, v[136:137], v[84:85] offset0:2 offset1:3
	ds_write2_b64 v65, v[78:79], v[70:71] offset0:4 offset1:5
	;; [unrolled: 1-line block ×4, first 2 shown]
	v_pk_fma_f32 v[78:79], v[72:73], s[6:7], v[106:107] neg_lo:[0,0,1] neg_hi:[0,0,1]
	v_pk_fma_f32 v[32:33], v[72:73], s[16:17], v[32:33] neg_lo:[0,0,1] neg_hi:[0,0,1]
	v_mov_b32_e32 v79, v161
	v_pk_fma_f32 v[80:81], v[74:75], s[24:25], v[104:105] neg_lo:[0,0,1] neg_hi:[0,0,1]
	v_mov_b32_e32 v33, v39
	v_pk_fma_f32 v[38:39], v[74:75], s[0:1], v[138:139] neg_lo:[0,0,1] neg_hi:[0,0,1]
	v_pk_add_f32 v[78:79], v[68:69], v[78:79]
	v_mov_b32_e32 v81, v165
	v_pk_add_f32 v[32:33], v[68:69], v[32:33]
	v_mov_b32_e32 v39, v141
	v_pk_add_f32 v[78:79], v[80:81], v[78:79]
	v_pk_fma_f32 v[80:81], v[76:77], s[28:29], v[102:103] neg_lo:[0,0,1] neg_hi:[0,0,1]
	v_pk_add_f32 v[32:33], v[38:39], v[32:33]
	v_pk_fma_f32 v[38:39], v[76:77], s[24:25], v[144:145] neg_lo:[0,0,1] neg_hi:[0,0,1]
	v_mov_b32_e32 v81, v167
	v_mov_b32_e32 v39, v147
	v_pk_add_f32 v[78:79], v[80:81], v[78:79]
	v_mov_b32_e32 v95, v169
	v_pk_add_f32 v[32:33], v[38:39], v[32:33]
	v_mov_b32_e32 v149, v151
	v_pk_add_f32 v[78:79], v[94:95], v[78:79]
	v_mov_b32_e32 v87, v163
	v_pk_add_f32 v[32:33], v[148:149], v[32:33]
	v_mov_b32_e32 v153, v155
	v_pk_add_f32 v[78:79], v[86:87], v[78:79]
	v_mov_b32_e32 v83, v97
	v_pk_add_f32 v[32:33], v[152:153], v[32:33]
	v_mov_b32_e32 v157, v159
	v_pk_add_f32 v[78:79], v[82:83], v[78:79]
	v_pk_add_f32 v[32:33], v[156:157], v[32:33]
	ds_write2_b64 v65, v[78:79], v[32:33] offset0:10 offset1:11
	v_pk_fma_f32 v[32:33], v[72:73], s[38:39], v[34:35] neg_lo:[0,0,1] neg_hi:[0,0,1]
	v_pk_fma_f32 v[34:35], v[74:75], s[16:17], v[40:41] neg_lo:[0,0,1] neg_hi:[0,0,1]
	v_mov_b32_e32 v33, v37
	v_pk_add_f32 v[32:33], v[68:69], v[32:33]
	v_mov_b32_e32 v35, v43
	v_pk_add_f32 v[32:33], v[34:35], v[32:33]
	v_pk_fma_f32 v[34:35], v[76:77], s[6:7], v[44:45] neg_lo:[0,0,1] neg_hi:[0,0,1]
	v_mov_b32_e32 v49, v51
	v_mov_b32_e32 v35, v47
	v_pk_add_f32 v[32:33], v[34:35], v[32:33]
	v_mov_b32_e32 v53, v55
	v_pk_add_f32 v[32:33], v[48:49], v[32:33]
	;; [unrolled: 2-line block ×3, first 2 shown]
	s_nop 0
	v_pk_add_f32 v[32:33], v[128:129], v[32:33]
	ds_write_b64 v65, v[32:33] offset:96
.LBB0_17:
	s_or_b64 exec, exec, s[34:35]
	v_add_u32_e32 v40, 0x400, v120
	s_waitcnt lgkmcnt(0)
	s_barrier
	ds_read2_b64 v[32:35], v120 offset1:117
	ds_read2_b64 v[36:39], v40 offset0:106 offset1:223
	ds_read_b64 v[76:77], v120 offset:3744
	v_mov_b32_e32 v74, v12
	v_mov_b32_e32 v75, v12
	;; [unrolled: 1-line block ×12, first 2 shown]
	s_and_saveexec_b64 s[0:1], s[2:3]
	s_cbranch_execz .LBB0_19
; %bb.18:
	ds_read_b64 v[70:71], v120 offset:520
	ds_read2_b64 v[60:63], v40 offset0:54 offset1:171
	v_add_u32_e32 v40, 0xc00, v120
	ds_read2_b64 v[56:59], v40 offset0:32 offset1:149
.LBB0_19:
	s_or_b64 exec, exec, s[0:1]
	s_waitcnt lgkmcnt(2)
	v_pk_mul_f32 v[12:13], v[12:13], v[34:35]
	s_waitcnt lgkmcnt(1)
	v_pk_mul_f32 v[14:15], v[14:15], v[36:37]
	v_pk_fma_f32 v[80:81], v[74:75], v[34:35], v[12:13] op_sel:[0,0,1] op_sel_hi:[1,1,0]
	v_pk_fma_f32 v[12:13], v[74:75], v[34:35], v[12:13] op_sel:[0,0,1] op_sel_hi:[1,1,0] neg_lo:[0,0,1] neg_hi:[0,0,1]
	v_pk_mul_f32 v[8:9], v[8:9], v[38:39]
	v_mov_b32_e32 v81, v13
	v_pk_fma_f32 v[12:13], v[72:73], v[36:37], v[14:15] op_sel:[0,0,1] op_sel_hi:[1,1,0]
	v_pk_fma_f32 v[14:15], v[72:73], v[36:37], v[14:15] op_sel:[0,0,1] op_sel_hi:[1,1,0] neg_lo:[0,0,1] neg_hi:[0,0,1]
	s_waitcnt lgkmcnt(0)
	v_pk_mul_f32 v[10:11], v[10:11], v[76:77]
	v_mov_b32_e32 v13, v15
	v_pk_fma_f32 v[14:15], v[68:69], v[38:39], v[8:9] op_sel:[0,0,1] op_sel_hi:[1,1,0]
	v_pk_fma_f32 v[8:9], v[68:69], v[38:39], v[8:9] op_sel:[0,0,1] op_sel_hi:[1,1,0] neg_lo:[0,0,1] neg_hi:[0,0,1]
	s_mov_b32 s6, 0x3f737871
	v_mov_b32_e32 v15, v9
	v_pk_fma_f32 v[8:9], v[78:79], v[76:77], v[10:11] op_sel:[0,0,1] op_sel_hi:[1,1,0]
	v_pk_fma_f32 v[10:11], v[78:79], v[76:77], v[10:11] op_sel:[0,0,1] op_sel_hi:[1,1,0] neg_lo:[0,0,1] neg_hi:[0,0,1]
	v_pk_add_f32 v[34:35], v[12:13], v[14:15]
	v_mov_b32_e32 v9, v11
	v_pk_add_f32 v[36:37], v[80:81], v[8:9] neg_lo:[0,1] neg_hi:[0,1]
	v_pk_fma_f32 v[34:35], v[34:35], 0.5, v[32:33] op_sel_hi:[1,0,1] neg_lo:[1,0,0] neg_hi:[1,0,0]
	v_pk_mul_f32 v[38:39], v[36:37], s[6:7] op_sel_hi:[1,0]
	v_pk_add_f32 v[68:69], v[12:13], v[14:15] neg_lo:[0,1] neg_hi:[0,1]
	s_mov_b32 s16, 0x3f167918
	v_pk_add_f32 v[74:75], v[80:81], v[12:13] neg_lo:[0,1] neg_hi:[0,1]
	v_pk_add_f32 v[76:77], v[8:9], v[14:15] neg_lo:[0,1] neg_hi:[0,1]
	v_pk_add_f32 v[10:11], v[32:33], v[80:81]
	v_pk_mul_f32 v[72:73], v[68:69], s[16:17] op_sel_hi:[1,0]
	v_pk_add_f32 v[74:75], v[74:75], v[76:77]
	v_pk_add_f32 v[76:77], v[34:35], v[38:39] op_sel:[0,1] op_sel_hi:[1,0] neg_lo:[0,1] neg_hi:[0,1]
	v_pk_add_f32 v[34:35], v[34:35], v[38:39] op_sel:[0,1] op_sel_hi:[1,0]
	v_pk_add_f32 v[10:11], v[10:11], v[12:13]
	v_pk_add_f32 v[34:35], v[34:35], v[72:73] op_sel:[0,1] op_sel_hi:[1,0]
	v_pk_add_f32 v[38:39], v[76:77], v[72:73] op_sel:[0,1] op_sel_hi:[1,0] neg_lo:[0,1] neg_hi:[0,1]
	v_pk_add_f32 v[10:11], v[10:11], v[14:15]
	s_mov_b32 s0, 0x3e9e377a
	v_mov_b32_e32 v72, v38
	v_mov_b32_e32 v73, v35
	v_pk_add_f32 v[10:11], v[10:11], v[8:9]
	v_pk_fma_f32 v[72:73], v[74:75], s[0:1], v[72:73] op_sel_hi:[1,0,1]
	s_barrier
	ds_write2_b64 v123, v[10:11], v[72:73] offset1:13
	v_pk_add_f32 v[10:11], v[80:81], v[8:9]
	v_pk_add_f32 v[12:13], v[12:13], v[80:81] neg_lo:[0,1] neg_hi:[0,1]
	v_pk_add_f32 v[8:9], v[14:15], v[8:9] neg_lo:[0,1] neg_hi:[0,1]
	v_pk_fma_f32 v[10:11], v[10:11], 0.5, v[32:33] op_sel_hi:[1,0,1] neg_lo:[1,0,0] neg_hi:[1,0,0]
	v_pk_add_f32 v[8:9], v[12:13], v[8:9]
	v_pk_mul_f32 v[12:13], v[68:69], s[6:7] op_sel_hi:[1,0]
	v_pk_mul_f32 v[14:15], v[36:37], s[16:17] op_sel_hi:[1,0]
	v_pk_add_f32 v[32:33], v[10:11], v[12:13] op_sel:[0,1] op_sel_hi:[1,0]
	v_pk_add_f32 v[10:11], v[10:11], v[12:13] op_sel:[0,1] op_sel_hi:[1,0] neg_lo:[0,1] neg_hi:[0,1]
	v_pk_add_f32 v[12:13], v[32:33], v[14:15] op_sel:[0,1] op_sel_hi:[1,0] neg_lo:[0,1] neg_hi:[0,1]
	v_pk_add_f32 v[10:11], v[10:11], v[14:15] op_sel:[0,1] op_sel_hi:[1,0]
	v_mov_b32_e32 v14, v12
	v_mov_b32_e32 v15, v11
	;; [unrolled: 1-line block ×3, first 2 shown]
	v_pk_fma_f32 v[14:15], v[8:9], s[0:1], v[14:15] op_sel_hi:[1,0,1]
	v_pk_fma_f32 v[8:9], v[8:9], s[0:1], v[10:11] op_sel_hi:[1,0,1]
	v_mov_b32_e32 v35, v39
	v_mov_b32_e32 v40, v20
	;; [unrolled: 1-line block ×25, first 2 shown]
	ds_write2_b64 v123, v[14:15], v[8:9] offset0:26 offset1:39
	v_pk_fma_f32 v[8:9], v[74:75], s[0:1], v[34:35] op_sel_hi:[1,0,1]
	ds_write_b64 v123, v[8:9] offset:416
	s_and_saveexec_b64 s[18:19], s[2:3]
	s_cbranch_execz .LBB0_21
; %bb.20:
	v_mul_u32_u24_e32 v32, 0x41, v121
	v_pk_mul_f32 v[10:11], v[6:7], v[62:63] op_sel:[0,1]
	v_add_u32_sdwa v32, v32, v122 dst_sel:DWORD dst_unused:UNUSED_PAD src0_sel:DWORD src1_sel:BYTE_0
	v_pk_mul_f32 v[8:9], v[4:5], v[60:61] op_sel:[0,1]
	v_lshl_add_u32 v38, v32, 3, v142
	v_pk_fma_f32 v[32:33], v[6:7], v[62:63], v[10:11] op_sel:[0,0,1] op_sel_hi:[1,1,0]
	v_pk_fma_f32 v[6:7], v[6:7], v[62:63], v[10:11] op_sel:[0,0,1] op_sel_hi:[1,0,0] neg_lo:[1,0,0] neg_hi:[1,0,0]
	v_pk_mul_f32 v[14:15], v[0:1], v[56:57] op_sel:[0,1]
	v_mov_b32_e32 v33, v7
	v_pk_fma_f32 v[6:7], v[4:5], v[60:61], v[8:9] op_sel:[0,0,1] op_sel_hi:[1,1,0]
	v_pk_fma_f32 v[4:5], v[4:5], v[60:61], v[8:9] op_sel:[0,0,1] op_sel_hi:[1,0,0] neg_lo:[1,0,0] neg_hi:[1,0,0]
	v_pk_mul_f32 v[12:13], v[2:3], v[58:59] op_sel:[0,1]
	v_mov_b32_e32 v7, v5
	v_pk_fma_f32 v[4:5], v[0:1], v[56:57], v[14:15] op_sel:[0,0,1] op_sel_hi:[1,1,0]
	v_pk_fma_f32 v[0:1], v[0:1], v[56:57], v[14:15] op_sel:[0,0,1] op_sel_hi:[1,0,0] neg_lo:[1,0,0] neg_hi:[1,0,0]
	v_pk_add_f32 v[8:9], v[6:7], v[32:33] neg_lo:[0,1] neg_hi:[0,1]
	v_mov_b32_e32 v5, v1
	v_pk_fma_f32 v[0:1], v[2:3], v[58:59], v[12:13] op_sel:[0,0,1] op_sel_hi:[1,1,0]
	v_pk_fma_f32 v[2:3], v[2:3], v[58:59], v[12:13] op_sel:[0,0,1] op_sel_hi:[1,0,0] neg_lo:[1,0,0] neg_hi:[1,0,0]
	s_nop 0
	v_mov_b32_e32 v1, v3
	v_pk_add_f32 v[10:11], v[0:1], v[4:5] neg_lo:[0,1] neg_hi:[0,1]
	v_pk_add_f32 v[12:13], v[6:7], v[0:1] neg_lo:[0,1] neg_hi:[0,1]
	v_pk_add_f32 v[8:9], v[10:11], v[8:9]
	v_pk_add_f32 v[10:11], v[32:33], v[4:5]
	v_pk_mul_f32 v[14:15], v[12:13], s[6:7] op_sel_hi:[1,0]
	v_pk_fma_f32 v[10:11], v[10:11], 0.5, v[70:71] op_sel_hi:[1,0,1] neg_lo:[1,0,0] neg_hi:[1,0,0]
	v_pk_add_f32 v[2:3], v[70:71], v[6:7]
	v_pk_add_f32 v[34:35], v[10:11], v[14:15] op_sel:[0,1] op_sel_hi:[1,0] neg_lo:[0,1] neg_hi:[0,1]
	v_pk_add_f32 v[10:11], v[10:11], v[14:15] op_sel:[0,1] op_sel_hi:[1,0]
	v_pk_add_f32 v[14:15], v[32:33], v[4:5] neg_lo:[0,1] neg_hi:[0,1]
	v_pk_add_f32 v[2:3], v[32:33], v[2:3]
	v_pk_mul_f32 v[36:37], v[14:15], s[16:17] op_sel_hi:[1,0]
	v_pk_add_f32 v[2:3], v[4:5], v[2:3]
	v_pk_add_f32 v[10:11], v[10:11], v[36:37] op_sel:[0,1] op_sel_hi:[1,0]
	v_pk_add_f32 v[34:35], v[34:35], v[36:37] op_sel:[0,1] op_sel_hi:[1,0] neg_lo:[0,1] neg_hi:[0,1]
	v_mov_b32_e32 v37, v11
	v_mov_b32_e32 v36, v34
	v_pk_add_f32 v[2:3], v[0:1], v[2:3]
	v_pk_fma_f32 v[36:37], v[8:9], s[0:1], v[36:37] op_sel_hi:[1,0,1]
	ds_write2_b64 v38, v[2:3], v[36:37] offset1:13
	v_pk_add_f32 v[2:3], v[32:33], v[6:7] neg_lo:[0,1] neg_hi:[0,1]
	v_pk_add_f32 v[4:5], v[4:5], v[0:1] neg_lo:[0,1] neg_hi:[0,1]
	v_pk_add_f32 v[0:1], v[0:1], v[6:7]
	v_pk_add_f32 v[2:3], v[4:5], v[2:3]
	v_pk_fma_f32 v[0:1], v[0:1], 0.5, v[70:71] op_sel_hi:[1,0,1] neg_lo:[1,0,0] neg_hi:[1,0,0]
	v_pk_mul_f32 v[4:5], v[14:15], s[6:7] op_sel_hi:[1,0]
	v_pk_mul_f32 v[6:7], v[12:13], s[16:17] op_sel_hi:[1,0]
	v_pk_add_f32 v[12:13], v[0:1], v[4:5] op_sel:[0,1] op_sel_hi:[1,0]
	v_pk_add_f32 v[0:1], v[0:1], v[4:5] op_sel:[0,1] op_sel_hi:[1,0] neg_lo:[0,1] neg_hi:[0,1]
	v_pk_add_f32 v[4:5], v[12:13], v[6:7] op_sel:[0,1] op_sel_hi:[1,0] neg_lo:[0,1] neg_hi:[0,1]
	v_pk_add_f32 v[0:1], v[0:1], v[6:7] op_sel:[0,1] op_sel_hi:[1,0]
	v_mov_b32_e32 v6, v4
	v_mov_b32_e32 v7, v1
	v_mov_b32_e32 v1, v5
	v_pk_fma_f32 v[6:7], v[2:3], s[0:1], v[6:7] op_sel_hi:[1,0,1]
	v_pk_fma_f32 v[0:1], v[2:3], s[0:1], v[0:1] op_sel_hi:[1,0,1]
	v_mov_b32_e32 v11, v35
	ds_write2_b64 v38, v[6:7], v[0:1] offset0:26 offset1:39
	v_pk_fma_f32 v[0:1], v[8:9], s[0:1], v[10:11] op_sel_hi:[1,0,1]
	ds_write_b64 v38, v[0:1] offset:416
.LBB0_21:
	s_or_b64 exec, exec, s[18:19]
	s_waitcnt lgkmcnt(0)
	s_barrier
	ds_read_b64 v[32:33], v120
	ds_read2_b64 v[0:3], v120 offset0:65 offset1:130
	v_add_u32_e32 v4, 0x400, v120
	ds_read2_b64 v[4:7], v4 offset0:67 offset1:132
	v_add_u32_e32 v8, 0x800, v120
	ds_read2_b64 v[8:11], v8 offset0:69 offset1:134
	s_waitcnt lgkmcnt(2)
	v_pk_mul_f32 v[28:29], v[28:29], v[0:1]
	v_add_u32_e32 v12, 0xc00, v120
	v_pk_fma_f32 v[34:35], v[54:55], v[0:1], v[28:29] op_sel:[0,0,1] op_sel_hi:[1,1,0]
	v_pk_fma_f32 v[0:1], v[54:55], v[0:1], v[28:29] op_sel:[0,0,1] op_sel_hi:[1,1,0] neg_lo:[0,0,1] neg_hi:[0,0,1]
	v_pk_mul_f32 v[28:29], v[30:31], v[2:3]
	s_waitcnt lgkmcnt(1)
	v_pk_mul_f32 v[24:25], v[24:25], v[4:5]
	v_pk_fma_f32 v[30:31], v[52:53], v[2:3], v[28:29] op_sel:[0,0,1] op_sel_hi:[1,1,0]
	v_pk_fma_f32 v[2:3], v[52:53], v[2:3], v[28:29] op_sel:[0,0,1] op_sel_hi:[1,1,0] neg_lo:[0,0,1] neg_hi:[0,0,1]
	v_pk_fma_f32 v[28:29], v[50:51], v[4:5], v[24:25] op_sel:[0,0,1] op_sel_hi:[1,1,0]
	v_pk_fma_f32 v[4:5], v[50:51], v[4:5], v[24:25] op_sel:[0,0,1] op_sel_hi:[1,1,0] neg_lo:[0,0,1] neg_hi:[0,0,1]
	ds_read2_b64 v[12:15], v12 offset0:71 offset1:136
	v_mov_b32_e32 v29, v5
	v_pk_mul_f32 v[4:5], v[26:27], v[6:7]
	s_mov_b32 s2, 0x3f248dbb
	v_pk_fma_f32 v[24:25], v[48:49], v[6:7], v[4:5] op_sel:[0,0,1] op_sel_hi:[1,1,0]
	v_pk_fma_f32 v[4:5], v[48:49], v[6:7], v[4:5] op_sel:[0,0,1] op_sel_hi:[1,1,0] neg_lo:[0,0,1] neg_hi:[0,0,1]
	v_mov_b32_e32 v31, v3
	v_mov_b32_e32 v25, v5
	s_waitcnt lgkmcnt(1)
	v_pk_mul_f32 v[4:5], v[20:21], v[8:9]
	v_mov_b32_e32 v2, v3
	v_pk_fma_f32 v[6:7], v[40:41], v[8:9], v[4:5] op_sel:[0,0,1] op_sel_hi:[1,1,0]
	v_pk_fma_f32 v[4:5], v[40:41], v[8:9], v[4:5] op_sel:[0,0,1] op_sel_hi:[1,1,0] neg_lo:[0,0,1] neg_hi:[0,0,1]
	v_mov_b32_e32 v3, v34
	v_mov_b32_e32 v7, v5
	v_pk_mul_f32 v[4:5], v[22:23], v[10:11]
	s_mov_b32 s3, 0x3f7c1c5c
	v_pk_fma_f32 v[8:9], v[46:47], v[10:11], v[4:5] op_sel:[0,0,1] op_sel_hi:[1,1,0]
	v_pk_fma_f32 v[4:5], v[46:47], v[10:11], v[4:5] op_sel:[0,0,1] op_sel_hi:[1,1,0] neg_lo:[0,0,1] neg_hi:[0,0,1]
	v_mov_b32_e32 v35, v1
	v_mov_b32_e32 v9, v5
	s_waitcnt lgkmcnt(0)
	v_pk_mul_f32 v[4:5], v[16:17], v[12:13]
	v_mov_b32_e32 v0, v1
	v_pk_fma_f32 v[10:11], v[44:45], v[12:13], v[4:5] op_sel:[0,0,1] op_sel_hi:[1,1,0]
	v_pk_fma_f32 v[4:5], v[44:45], v[12:13], v[4:5] op_sel:[0,0,1] op_sel_hi:[1,1,0] neg_lo:[0,0,1] neg_hi:[0,0,1]
	v_pk_mul_f32 v[12:13], v[18:19], v[14:15]
	v_mov_b32_e32 v11, v5
	v_pk_fma_f32 v[16:17], v[42:43], v[14:15], v[12:13] op_sel:[0,0,1] op_sel_hi:[1,1,0]
	v_pk_fma_f32 v[12:13], v[42:43], v[14:15], v[12:13] op_sel:[0,0,1] op_sel_hi:[1,1,0] neg_lo:[0,0,1] neg_hi:[0,0,1]
	v_mov_b32_e32 v4, v5
	v_mov_b32_e32 v5, v16
	;; [unrolled: 1-line block ×6, first 2 shown]
	v_pk_add_f32 v[2:3], v[2:3], v[4:5] neg_lo:[0,1] neg_hi:[0,1]
	s_mov_b32 s6, s3
	s_mov_b32 s7, s2
	v_pk_add_f32 v[20:21], v[28:29], v[8:9]
	v_pk_add_f32 v[0:1], v[0:1], v[12:13] neg_lo:[0,1] neg_hi:[0,1]
	v_pk_add_f32 v[4:5], v[28:29], v[8:9] neg_lo:[0,1] neg_hi:[0,1]
	s_mov_b32 s0, 0x3f5db3d7
	v_pk_mul_f32 v[8:9], v[2:3], s[6:7]
	v_pk_add_f32 v[14:15], v[34:35], v[16:17]
	v_pk_add_f32 v[18:19], v[30:31], v[10:11]
	v_pk_mul_f32 v[4:5], v[4:5], s[0:1] op_sel_hi:[1,0]
	v_pk_fma_f32 v[8:9], v[0:1], s[2:3], v[8:9]
	v_pk_add_f32 v[10:11], v[24:25], v[6:7] neg_lo:[0,1] neg_hi:[0,1]
	s_mov_b32 s6, 0x3eaf1d44
	v_pk_add_f32 v[22:23], v[18:19], v[14:15]
	v_pk_add_f32 v[8:9], v[4:5], v[8:9] op_sel:[1,0] op_sel_hi:[0,1]
	v_pk_mul_f32 v[12:13], v[10:11], s[6:7] op_sel_hi:[1,0]
	s_mov_b32 s16, 0x3f441b7d
	v_pk_add_f32 v[26:27], v[20:21], v[22:23]
	v_pk_add_f32 v[8:9], v[12:13], v[8:9] op_sel:[1,0] op_sel_hi:[0,1]
	v_pk_fma_f32 v[12:13], v[14:15], s[16:17], v[32:33] op_sel_hi:[1,0,1]
	s_mov_b32 s18, 0x3e31d0d4
	v_pk_add_f32 v[26:27], v[24:25], v[26:27]
	v_pk_fma_f32 v[12:13], v[18:19], s[18:19], v[12:13] op_sel_hi:[1,0,1]
	v_pk_add_f32 v[26:27], v[6:7], v[26:27]
	v_pk_fma_f32 v[12:13], v[20:21], 0.5, v[12:13] op_sel_hi:[1,0,1] neg_lo:[1,0,0] neg_hi:[1,0,0]
	v_pk_add_f32 v[6:7], v[24:25], v[6:7]
	s_mov_b32 s20, 0x3f708fb2
	v_pk_fma_f32 v[12:13], v[6:7], s[20:21], v[12:13] op_sel_hi:[1,0,1] neg_lo:[1,0,0] neg_hi:[1,0,0]
	v_mov_b32_e32 v24, v0
	v_pk_add_f32 v[16:17], v[12:13], v[8:9] neg_lo:[0,1] neg_hi:[0,1]
	v_pk_add_f32 v[12:13], v[12:13], v[8:9]
	v_mov_b32_e32 v25, v3
	v_fma_f32 v12, 2.0, v8, v16
	v_mov_b32_e32 v17, v13
	v_fmac_f32_e32 v13, -2.0, v9
	v_pk_mul_f32 v[8:9], v[10:11], s[2:3] op_sel_hi:[1,0]
	s_mov_b32 s2, s3
	v_pk_fma_f32 v[28:29], v[6:7], s[16:17], v[32:33] op_sel_hi:[1,0,1]
	v_pk_add_f32 v[26:27], v[26:27], v[32:33]
	v_pk_fma_f32 v[8:9], v[24:25], s[2:3], v[8:9] op_sel:[0,0,1] op_sel_hi:[1,0,0] neg_lo:[0,0,1] neg_hi:[0,0,1]
	v_pk_fma_f32 v[28:29], v[14:15], s[18:19], v[28:29] op_sel_hi:[1,0,1]
	ds_write_b64 v124, v[26:27]
	v_pk_add_f32 v[8:9], v[8:9], v[4:5] op_sel:[0,1] op_sel_hi:[1,0] neg_lo:[0,1] neg_hi:[0,1]
	v_mov_b32_e32 v26, v2
	v_mov_b32_e32 v27, v1
	v_pk_fma_f32 v[28:29], v[20:21], 0.5, v[28:29] op_sel_hi:[1,0,1] neg_lo:[1,0,0] neg_hi:[1,0,0]
	v_pk_fma_f32 v[8:9], v[26:27], s[6:7], v[8:9] op_sel_hi:[1,0,1]
	v_pk_fma_f32 v[28:29], v[18:19], s[20:21], v[28:29] op_sel_hi:[1,0,1] neg_lo:[1,0,0] neg_hi:[1,0,0]
	s_nop 0
	v_pk_add_f32 v[30:31], v[28:29], v[8:9] neg_lo:[0,1] neg_hi:[0,1]
	v_pk_add_f32 v[28:29], v[28:29], v[8:9]
	s_nop 0
	v_mov_b32_e32 v31, v29
	ds_write2_b64 v124, v[16:17], v[30:31] offset0:65 offset1:130
	v_mov_b32_e32 v16, v3
	v_mov_b32_e32 v17, v0
	v_pk_add_f32 v[16:17], v[10:11], v[16:17]
	v_mov_b32_e32 v0, v1
	v_mov_b32_e32 v1, v2
	v_fma_f32 v28, 2.0, v8, v30
	v_fmac_f32_e32 v29, -2.0, v9
	v_pk_add_f32 v[8:9], v[20:21], v[32:33]
	v_pk_add_f32 v[0:1], v[16:17], v[0:1] neg_lo:[0,1] neg_hi:[0,1]
	v_pk_add_f32 v[2:3], v[6:7], v[22:23]
	v_pk_mul_f32 v[0:1], v[0:1], s[0:1] op_sel_hi:[1,0]
	v_pk_fma_f32 v[2:3], v[2:3], 0.5, v[8:9] op_sel_hi:[1,0,1] neg_lo:[1,0,0] neg_hi:[1,0,0]
	s_mov_b32 s0, 0xbf248dbb
	v_pk_add_f32 v[8:9], v[2:3], v[0:1] op_sel:[0,1] op_sel_hi:[1,0] neg_lo:[0,1] neg_hi:[0,1]
	v_pk_add_f32 v[16:17], v[2:3], v[0:1] op_sel:[0,1] op_sel_hi:[1,0]
	v_pk_mul_f32 v[2:3], v[10:11], s[2:3] op_sel_hi:[1,0]
	v_fma_f32 v16, 2.0, v1, v8
	v_mov_b32_e32 v9, v17
	v_fmac_f32_e32 v17, -2.0, v0
	v_pk_fma_f32 v[0:1], v[18:19], s[16:17], v[32:33] op_sel_hi:[1,0,1]
	v_pk_fma_f32 v[2:3], v[26:27], s[0:1], v[2:3] op_sel:[0,0,1] op_sel_hi:[1,0,0] neg_lo:[0,0,1] neg_hi:[0,0,1]
	v_pk_fma_f32 v[0:1], v[6:7], s[18:19], v[0:1] op_sel_hi:[1,0,1]
	v_pk_add_f32 v[2:3], v[4:5], v[2:3] op_sel:[1,0] op_sel_hi:[0,1]
	v_pk_fma_f32 v[0:1], v[20:21], 0.5, v[0:1] op_sel_hi:[1,0,1] neg_lo:[1,0,0] neg_hi:[1,0,0]
	v_pk_fma_f32 v[2:3], v[24:25], s[6:7], v[2:3] op_sel_hi:[1,0,1]
	v_pk_fma_f32 v[0:1], v[14:15], s[20:21], v[0:1] op_sel_hi:[1,0,1] neg_lo:[1,0,0] neg_hi:[1,0,0]
	s_nop 0
	v_pk_add_f32 v[4:5], v[0:1], v[2:3] neg_lo:[0,1] neg_hi:[0,1]
	v_pk_add_f32 v[6:7], v[0:1], v[2:3]
	v_add_u32_e32 v1, 0x800, v124
	v_fma_f32 v6, 2.0, v2, v4
	v_mov_b32_e32 v5, v7
	v_fmac_f32_e32 v7, -2.0, v3
	v_add_u32_e32 v2, 0x400, v124
	v_add_u32_e32 v0, 0xc00, v124
	ds_write2_b64 v2, v[8:9], v[4:5] offset0:67 offset1:132
	ds_write2_b64 v1, v[6:7], v[16:17] offset0:69 offset1:134
	;; [unrolled: 1-line block ×3, first 2 shown]
	s_waitcnt lgkmcnt(0)
	s_barrier
	s_and_b64 exec, exec, s[4:5]
	s_cbranch_execz .LBB0_23
; %bb.22:
	global_load_dwordx2 v[12:13], v64, s[12:13]
	global_load_dwordx2 v[14:15], v64, s[12:13] offset:360
	global_load_dwordx2 v[16:17], v64, s[12:13] offset:720
	;; [unrolled: 1-line block ×4, first 2 shown]
	ds_read_b64 v[26:27], v124
	ds_read2_b64 v[4:7], v124 offset0:45 offset1:90
	ds_read2_b64 v[8:11], v124 offset0:135 offset1:180
	global_load_dwordx2 v[30:31], v64, s[12:13] offset:1800
	global_load_dwordx2 v[32:33], v64, s[12:13] offset:2160
	;; [unrolled: 1-line block ×3, first 2 shown]
	v_mad_u64_u32 v[28:29], s[2:3], s8, v67, 0
	v_mov_b32_e32 v40, v29
	v_mad_u64_u32 v[40:41], s[4:5], s9, v67, v[40:41]
	v_mov_b32_e32 v29, v40
	;; [unrolled: 2-line block ×4, first 2 shown]
	v_mov_b32_e32 v21, s15
	s_mov_b32 s0, 0x1c01c01c
	v_mov_b32_e32 v23, v36
	s_mov_b32 s1, 0x3f5c01c0
	v_lshl_add_u64 v[20:21], v[22:23], 3, v[20:21]
	v_mov_b32_e32 v42, 0x168
	v_lshl_add_u64 v[20:21], v[28:29], 3, v[20:21]
	s_mul_i32 s2, s9, 0x168
	v_mad_u64_u32 v[22:23], s[4:5], s8, v42, v[20:21]
	v_add_u32_e32 v23, s2, v23
	v_mad_u64_u32 v[28:29], s[4:5], s8, v42, v[22:23]
	v_add_u32_e32 v29, s2, v29
	;; [unrolled: 2-line block ×3, first 2 shown]
	v_mov_b32_e32 v65, 0
	v_lshl_add_u64 v[38:39], s[12:13], 0, v[64:65]
	s_movk_i32 s3, 0x1000
	s_waitcnt vmcnt(7) lgkmcnt(2)
	v_mul_f32_e32 v3, v27, v13
	s_waitcnt vmcnt(6) lgkmcnt(1)
	v_mul_f32_e32 v40, v5, v15
	s_waitcnt vmcnt(5)
	v_mul_f32_e32 v41, v7, v17
	v_mul_f32_e32 v13, v26, v13
	v_mul_f32_e32 v15, v4, v15
	s_waitcnt vmcnt(4) lgkmcnt(0)
	v_mul_f32_e32 v43, v9, v19
	v_mul_f32_e32 v19, v8, v19
	v_fmac_f32_e32 v40, v4, v14
	v_fmac_f32_e32 v41, v6, v16
	;; [unrolled: 1-line block ×3, first 2 shown]
	v_fma_f32 v12, v12, v27, -v13
	v_fma_f32 v13, v14, v5, -v15
	v_fmac_f32_e32 v43, v8, v18
	v_fma_f32 v26, v18, v9, -v19
	v_cvt_f64_f32_e32 v[8:9], v40
	v_cvt_f64_f32_e32 v[14:15], v41
	global_load_dwordx2 v[40:41], v64, s[12:13] offset:2880
	v_mul_f32_e32 v17, v6, v17
	v_fma_f32 v16, v16, v7, -v17
	v_cvt_f64_f32_e32 v[4:5], v3
	v_cvt_f64_f32_e32 v[6:7], v12
	v_mul_f64 v[4:5], v[4:5], s[0:1]
	v_mul_f64 v[6:7], v[6:7], s[0:1]
	;; [unrolled: 1-line block ×4, first 2 shown]
	v_cvt_f64_f32_e32 v[12:13], v13
	v_cvt_f32_f64_e32 v4, v[4:5]
	v_cvt_f32_f64_e32 v5, v[6:7]
	;; [unrolled: 1-line block ×4, first 2 shown]
	global_load_dwordx2 v[14:15], v64, s[12:13] offset:3240
	v_cvt_f64_f32_e32 v[16:17], v16
	v_mul_f64 v[12:13], v[12:13], s[0:1]
	v_mul_f64 v[16:17], v[16:17], s[0:1]
	v_cvt_f32_f64_e32 v7, v[12:13]
	v_cvt_f32_f64_e32 v9, v[16:17]
	global_store_dwordx2 v[20:21], v[4:5], off
	global_store_dwordx2 v[22:23], v[6:7], off
	global_store_dwordx2 v[28:29], v[8:9], off
	global_load_dwordx2 v[8:9], v64, s[12:13] offset:3600
	v_cvt_f64_f32_e32 v[18:19], v43
	v_cvt_f64_f32_e32 v[26:27], v26
	v_mul_f64 v[18:19], v[18:19], s[0:1]
	v_mul_f64 v[26:27], v[26:27], s[0:1]
	v_cvt_f32_f64_e32 v12, v[18:19]
	v_cvt_f32_f64_e32 v13, v[26:27]
	global_store_dwordx2 v[36:37], v[12:13], off
	global_load_dwordx2 v[12:13], v64, s[12:13] offset:3960
	s_waitcnt vmcnt(11)
	v_mul_f32_e32 v3, v11, v25
	v_fmac_f32_e32 v3, v10, v24
	v_cvt_f64_f32_e32 v[4:5], v3
	v_mul_f32_e32 v3, v10, v25
	v_mul_f64 v[4:5], v[4:5], s[0:1]
	v_fma_f32 v3, v24, v11, -v3
	v_cvt_f32_f64_e32 v6, v[4:5]
	v_cvt_f64_f32_e32 v[4:5], v3
	v_mul_f64 v[4:5], v[4:5], s[0:1]
	v_cvt_f32_f64_e32 v7, v[4:5]
	ds_read2_b64 v[2:5], v2 offset0:97 offset1:142
	v_mad_u64_u32 v[10:11], s[4:5], s8, v42, v[36:37]
	v_add_u32_e32 v11, s2, v11
	global_store_dwordx2 v[10:11], v[6:7], off
	s_waitcnt vmcnt(11) lgkmcnt(0)
	v_mul_f32_e32 v6, v3, v31
	v_fmac_f32_e32 v6, v2, v30
	v_mul_f32_e32 v2, v2, v31
	v_fma_f32 v2, v30, v3, -v2
	v_cvt_f64_f32_e32 v[6:7], v6
	v_cvt_f64_f32_e32 v[2:3], v2
	v_mul_f64 v[6:7], v[6:7], s[0:1]
	v_mul_f64 v[2:3], v[2:3], s[0:1]
	v_cvt_f32_f64_e32 v6, v[6:7]
	v_cvt_f32_f64_e32 v7, v[2:3]
	s_waitcnt vmcnt(10)
	v_mul_f32_e32 v2, v5, v33
	v_fmac_f32_e32 v2, v4, v32
	v_mad_u64_u32 v[10:11], s[4:5], s8, v42, v[10:11]
	v_cvt_f64_f32_e32 v[2:3], v2
	v_add_u32_e32 v11, s2, v11
	v_mul_f64 v[2:3], v[2:3], s[0:1]
	global_store_dwordx2 v[10:11], v[6:7], off
	v_cvt_f32_f64_e32 v6, v[2:3]
	v_mul_f32_e32 v2, v4, v33
	v_fma_f32 v2, v32, v5, -v2
	v_cvt_f64_f32_e32 v[2:3], v2
	v_mul_f64 v[2:3], v[2:3], s[0:1]
	v_cvt_f32_f64_e32 v7, v[2:3]
	ds_read2_b64 v[2:5], v1 offset0:59 offset1:104
	v_mad_u64_u32 v[10:11], s[4:5], s8, v42, v[10:11]
	v_add_u32_e32 v11, s2, v11
	global_store_dwordx2 v[10:11], v[6:7], off
	s_waitcnt vmcnt(11) lgkmcnt(0)
	v_mul_f32_e32 v6, v3, v35
	v_fmac_f32_e32 v6, v2, v34
	v_mul_f32_e32 v2, v2, v35
	v_fma_f32 v2, v34, v3, -v2
	v_cvt_f64_f32_e32 v[6:7], v6
	v_cvt_f64_f32_e32 v[2:3], v2
	v_mul_f64 v[6:7], v[6:7], s[0:1]
	v_mul_f64 v[2:3], v[2:3], s[0:1]
	v_cvt_f32_f64_e32 v6, v[6:7]
	v_cvt_f32_f64_e32 v7, v[2:3]
	s_waitcnt vmcnt(10)
	v_mul_f32_e32 v2, v5, v41
	v_fmac_f32_e32 v2, v4, v40
	v_mad_u64_u32 v[10:11], s[4:5], s8, v42, v[10:11]
	v_cvt_f64_f32_e32 v[2:3], v2
	v_add_u32_e32 v11, s2, v11
	v_mul_f64 v[2:3], v[2:3], s[0:1]
	global_store_dwordx2 v[10:11], v[6:7], off
	v_cvt_f32_f64_e32 v6, v[2:3]
	v_mul_f32_e32 v2, v4, v41
	v_fma_f32 v2, v40, v5, -v2
	v_cvt_f64_f32_e32 v[2:3], v2
	v_mul_f64 v[2:3], v[2:3], s[0:1]
	v_cvt_f32_f64_e32 v7, v[2:3]
	ds_read2_b64 v[2:5], v1 offset0:149 offset1:194
	v_mad_u64_u32 v[10:11], s[4:5], s8, v42, v[10:11]
	v_add_u32_e32 v11, s2, v11
	global_store_dwordx2 v[10:11], v[6:7], off
	s_waitcnt vmcnt(11) lgkmcnt(0)
	v_mul_f32_e32 v1, v3, v15
	v_fmac_f32_e32 v1, v2, v14
	v_cvt_f64_f32_e32 v[6:7], v1
	v_mul_f32_e32 v1, v2, v15
	v_fma_f32 v1, v14, v3, -v1
	v_cvt_f64_f32_e32 v[2:3], v1
	s_waitcnt vmcnt(7)
	v_mul_f32_e32 v1, v5, v9
	v_mul_f64 v[6:7], v[6:7], s[0:1]
	v_mul_f64 v[2:3], v[2:3], s[0:1]
	v_fmac_f32_e32 v1, v4, v8
	v_cvt_f32_f64_e32 v6, v[6:7]
	v_cvt_f32_f64_e32 v7, v[2:3]
	v_mad_u64_u32 v[10:11], s[4:5], s8, v42, v[10:11]
	v_cvt_f64_f32_e32 v[2:3], v1
	v_mul_f32_e32 v1, v4, v9
	v_add_u32_e32 v11, s2, v11
	v_mul_f64 v[2:3], v[2:3], s[0:1]
	v_fma_f32 v1, v8, v5, -v1
	global_store_dwordx2 v[10:11], v[6:7], off
	v_cvt_f32_f64_e32 v6, v[2:3]
	v_cvt_f64_f32_e32 v[2:3], v1
	v_mul_f64 v[2:3], v[2:3], s[0:1]
	v_cvt_f32_f64_e32 v7, v[2:3]
	ds_read2_b64 v[0:3], v0 offset0:111 offset1:156
	v_mad_u64_u32 v[4:5], s[4:5], s8, v42, v[10:11]
	v_add_u32_e32 v5, s2, v5
	global_store_dwordx2 v[4:5], v[6:7], off
	s_waitcnt vmcnt(7) lgkmcnt(0)
	v_mul_f32_e32 v6, v1, v13
	v_fmac_f32_e32 v6, v0, v12
	v_mul_f32_e32 v0, v0, v13
	v_fma_f32 v0, v12, v1, -v0
	v_cvt_f64_f32_e32 v[6:7], v6
	v_cvt_f64_f32_e32 v[0:1], v0
	v_mul_f64 v[6:7], v[6:7], s[0:1]
	v_mul_f64 v[0:1], v[0:1], s[0:1]
	v_cvt_f32_f64_e32 v6, v[6:7]
	v_cvt_f32_f64_e32 v7, v[0:1]
	v_mad_u64_u32 v[0:1], s[4:5], s8, v42, v[4:5]
	v_add_u32_e32 v1, s2, v1
	v_add_co_u32_e32 v4, vcc, s3, v38
	global_store_dwordx2 v[0:1], v[6:7], off
	s_nop 0
	v_addc_co_u32_e32 v5, vcc, 0, v39, vcc
	global_load_dwordx2 v[4:5], v[4:5], off offset:224
	s_waitcnt vmcnt(0)
	v_mul_f32_e32 v6, v3, v5
	v_fmac_f32_e32 v6, v2, v4
	v_mul_f32_e32 v2, v2, v5
	v_fma_f32 v2, v4, v3, -v2
	v_cvt_f64_f32_e32 v[6:7], v6
	v_cvt_f64_f32_e32 v[2:3], v2
	v_mul_f64 v[6:7], v[6:7], s[0:1]
	v_mul_f64 v[2:3], v[2:3], s[0:1]
	v_mad_u64_u32 v[0:1], s[0:1], s8, v42, v[0:1]
	v_cvt_f32_f64_e32 v6, v[6:7]
	v_cvt_f32_f64_e32 v7, v[2:3]
	v_add_u32_e32 v1, s2, v1
	global_store_dwordx2 v[0:1], v[6:7], off
.LBB0_23:
	s_endpgm
	.section	.rodata,"a",@progbits
	.p2align	6, 0x0
	.amdhsa_kernel bluestein_single_back_len585_dim1_sp_op_CI_CI
		.amdhsa_group_segment_fixed_size 14040
		.amdhsa_private_segment_fixed_size 0
		.amdhsa_kernarg_size 104
		.amdhsa_user_sgpr_count 2
		.amdhsa_user_sgpr_dispatch_ptr 0
		.amdhsa_user_sgpr_queue_ptr 0
		.amdhsa_user_sgpr_kernarg_segment_ptr 1
		.amdhsa_user_sgpr_dispatch_id 0
		.amdhsa_user_sgpr_kernarg_preload_length 0
		.amdhsa_user_sgpr_kernarg_preload_offset 0
		.amdhsa_user_sgpr_private_segment_size 0
		.amdhsa_uses_dynamic_stack 0
		.amdhsa_enable_private_segment 0
		.amdhsa_system_sgpr_workgroup_id_x 1
		.amdhsa_system_sgpr_workgroup_id_y 0
		.amdhsa_system_sgpr_workgroup_id_z 0
		.amdhsa_system_sgpr_workgroup_info 0
		.amdhsa_system_vgpr_workitem_id 0
		.amdhsa_next_free_vgpr 176
		.amdhsa_next_free_sgpr 46
		.amdhsa_accum_offset 176
		.amdhsa_reserve_vcc 1
		.amdhsa_float_round_mode_32 0
		.amdhsa_float_round_mode_16_64 0
		.amdhsa_float_denorm_mode_32 3
		.amdhsa_float_denorm_mode_16_64 3
		.amdhsa_dx10_clamp 1
		.amdhsa_ieee_mode 1
		.amdhsa_fp16_overflow 0
		.amdhsa_tg_split 0
		.amdhsa_exception_fp_ieee_invalid_op 0
		.amdhsa_exception_fp_denorm_src 0
		.amdhsa_exception_fp_ieee_div_zero 0
		.amdhsa_exception_fp_ieee_overflow 0
		.amdhsa_exception_fp_ieee_underflow 0
		.amdhsa_exception_fp_ieee_inexact 0
		.amdhsa_exception_int_div_zero 0
	.end_amdhsa_kernel
	.text
.Lfunc_end0:
	.size	bluestein_single_back_len585_dim1_sp_op_CI_CI, .Lfunc_end0-bluestein_single_back_len585_dim1_sp_op_CI_CI
                                        ; -- End function
	.section	.AMDGPU.csdata,"",@progbits
; Kernel info:
; codeLenInByte = 12420
; NumSgprs: 52
; NumVgprs: 176
; NumAgprs: 0
; TotalNumVgprs: 176
; ScratchSize: 0
; MemoryBound: 0
; FloatMode: 240
; IeeeMode: 1
; LDSByteSize: 14040 bytes/workgroup (compile time only)
; SGPRBlocks: 6
; VGPRBlocks: 21
; NumSGPRsForWavesPerEU: 52
; NumVGPRsForWavesPerEU: 176
; AccumOffset: 176
; Occupancy: 2
; WaveLimiterHint : 1
; COMPUTE_PGM_RSRC2:SCRATCH_EN: 0
; COMPUTE_PGM_RSRC2:USER_SGPR: 2
; COMPUTE_PGM_RSRC2:TRAP_HANDLER: 0
; COMPUTE_PGM_RSRC2:TGID_X_EN: 1
; COMPUTE_PGM_RSRC2:TGID_Y_EN: 0
; COMPUTE_PGM_RSRC2:TGID_Z_EN: 0
; COMPUTE_PGM_RSRC2:TIDIG_COMP_CNT: 0
; COMPUTE_PGM_RSRC3_GFX90A:ACCUM_OFFSET: 43
; COMPUTE_PGM_RSRC3_GFX90A:TG_SPLIT: 0
	.text
	.p2alignl 6, 3212836864
	.fill 256, 4, 3212836864
	.type	__hip_cuid_a56a9f9f502f2755,@object ; @__hip_cuid_a56a9f9f502f2755
	.section	.bss,"aw",@nobits
	.globl	__hip_cuid_a56a9f9f502f2755
__hip_cuid_a56a9f9f502f2755:
	.byte	0                               ; 0x0
	.size	__hip_cuid_a56a9f9f502f2755, 1

	.ident	"AMD clang version 19.0.0git (https://github.com/RadeonOpenCompute/llvm-project roc-6.4.0 25133 c7fe45cf4b819c5991fe208aaa96edf142730f1d)"
	.section	".note.GNU-stack","",@progbits
	.addrsig
	.addrsig_sym __hip_cuid_a56a9f9f502f2755
	.amdgpu_metadata
---
amdhsa.kernels:
  - .agpr_count:     0
    .args:
      - .actual_access:  read_only
        .address_space:  global
        .offset:         0
        .size:           8
        .value_kind:     global_buffer
      - .actual_access:  read_only
        .address_space:  global
        .offset:         8
        .size:           8
        .value_kind:     global_buffer
      - .actual_access:  read_only
        .address_space:  global
        .offset:         16
        .size:           8
        .value_kind:     global_buffer
      - .actual_access:  read_only
        .address_space:  global
        .offset:         24
        .size:           8
        .value_kind:     global_buffer
      - .actual_access:  read_only
        .address_space:  global
        .offset:         32
        .size:           8
        .value_kind:     global_buffer
      - .offset:         40
        .size:           8
        .value_kind:     by_value
      - .address_space:  global
        .offset:         48
        .size:           8
        .value_kind:     global_buffer
      - .address_space:  global
        .offset:         56
        .size:           8
        .value_kind:     global_buffer
      - .address_space:  global
        .offset:         64
        .size:           8
        .value_kind:     global_buffer
      - .address_space:  global
        .offset:         72
        .size:           8
        .value_kind:     global_buffer
      - .offset:         80
        .size:           4
        .value_kind:     by_value
      - .address_space:  global
        .offset:         88
        .size:           8
        .value_kind:     global_buffer
      - .address_space:  global
        .offset:         96
        .size:           8
        .value_kind:     global_buffer
    .group_segment_fixed_size: 14040
    .kernarg_segment_align: 8
    .kernarg_segment_size: 104
    .language:       OpenCL C
    .language_version:
      - 2
      - 0
    .max_flat_workgroup_size: 195
    .name:           bluestein_single_back_len585_dim1_sp_op_CI_CI
    .private_segment_fixed_size: 0
    .sgpr_count:     52
    .sgpr_spill_count: 0
    .symbol:         bluestein_single_back_len585_dim1_sp_op_CI_CI.kd
    .uniform_work_group_size: 1
    .uses_dynamic_stack: false
    .vgpr_count:     176
    .vgpr_spill_count: 0
    .wavefront_size: 64
amdhsa.target:   amdgcn-amd-amdhsa--gfx950
amdhsa.version:
  - 1
  - 2
...

	.end_amdgpu_metadata
